;; amdgpu-corpus repo=LLNL/RAJAPerf kind=compiled arch=gfx906 opt=O3
	.amdgcn_target "amdgcn-amd-amdhsa--gfx906"
	.amdhsa_code_object_version 6
	.section	.text._ZN8rajaperf4apps17intsc_hexrect_hipILm64EEEvPdS2_S2_PiPcS3_S3_lS2_,"axG",@progbits,_ZN8rajaperf4apps17intsc_hexrect_hipILm64EEEvPdS2_S2_PiPcS3_S3_lS2_,comdat
	.protected	_ZN8rajaperf4apps17intsc_hexrect_hipILm64EEEvPdS2_S2_PiPcS3_S3_lS2_ ; -- Begin function _ZN8rajaperf4apps17intsc_hexrect_hipILm64EEEvPdS2_S2_PiPcS3_S3_lS2_
	.globl	_ZN8rajaperf4apps17intsc_hexrect_hipILm64EEEvPdS2_S2_PiPcS3_S3_lS2_
	.p2align	8
	.type	_ZN8rajaperf4apps17intsc_hexrect_hipILm64EEEvPdS2_S2_PiPcS3_S3_lS2_,@function
_ZN8rajaperf4apps17intsc_hexrect_hipILm64EEEvPdS2_S2_PiPcS3_S3_lS2_: ; @_ZN8rajaperf4apps17intsc_hexrect_hipILm64EEEvPdS2_S2_PiPcS3_S3_lS2_
; %bb.0:
	s_load_dwordx16 s[8:23], s[4:5], 0x0
	s_add_u32 s0, s0, s7
	s_mov_b32 s7, 0
	s_addc_u32 s1, s1, 0
	s_lshl_b64 s[24:25], s[6:7], 6
	v_or_b32_e32 v29, s24, v0
	v_mov_b32_e32 v30, s25
	s_waitcnt lgkmcnt(0)
	v_cmp_gt_i64_e32 vcc, s[22:23], v[29:30]
	s_and_saveexec_b64 s[22:23], vcc
	s_cbranch_execz .LBB0_348
; %bb.1:
	v_lshlrev_b64 v[9:10], 2, v[29:30]
	v_mov_b32_e32 v2, s19
	v_add_co_u32_e32 v1, vcc, s18, v9
	v_addc_co_u32_e32 v2, vcc, v2, v10, vcc
	global_load_dword v1, v[1:2], off
	v_mov_b32_e32 v3, s15
	v_mov_b32_e32 v19, s9
	;; [unrolled: 1-line block ×23, first 2 shown]
	s_movk_i32 s33, 0xf8
	s_movk_i32 s34, 0xe8
	s_or_b32 s35, 0xd0, 8
	s_movk_i32 s36, 0x100
	s_movk_i32 s37, 0xe0
	;; [unrolled: 1-line block ×4, first 2 shown]
	s_mov_b64 s[22:23], 0
	s_waitcnt vmcnt(0)
	v_lshlrev_b32_e32 v1, 3, v1
	v_ashrrev_i32_e32 v2, 31, v1
	v_lshlrev_b64 v[1:2], 2, v[1:2]
	v_add_co_u32_e32 v11, vcc, s14, v1
	v_addc_co_u32_e32 v12, vcc, v3, v2, vcc
	global_load_dwordx4 v[1:4], v[11:12], off
	global_load_dwordx4 v[5:8], v[11:12], off offset:16
	v_mov_b32_e32 v11, s21
	v_add_co_u32_e32 v9, vcc, s20, v9
	v_addc_co_u32_e32 v10, vcc, v11, v10, vcc
	s_load_dwordx2 s[14:15], s[16:17], 0x4
	s_load_dwordx4 s[24:27], s[16:17], 0x10
	global_load_dword v57, v[9:10], off
	s_waitcnt lgkmcnt(0)
	s_abs_i32 s6, s15
	v_cvt_f32_u32_e32 v58, s6
	s_waitcnt vmcnt(2)
	v_ashrrev_i32_e32 v10, 31, v1
	v_mov_b32_e32 v9, v1
	v_ashrrev_i32_e32 v12, 31, v2
	v_mov_b32_e32 v11, v2
	;; [unrolled: 2-line block ×4, first 2 shown]
	s_waitcnt vmcnt(1)
	v_ashrrev_i32_e32 v4, 31, v5
	v_mov_b32_e32 v3, v5
	v_ashrrev_i32_e32 v16, 31, v6
	v_mov_b32_e32 v15, v6
	;; [unrolled: 2-line block ×4, first 2 shown]
	v_lshlrev_b64 v[7:8], 3, v[9:10]
	v_lshlrev_b64 v[9:10], 3, v[11:12]
	;; [unrolled: 1-line block ×5, first 2 shown]
	v_add_co_u32_e32 v17, vcc, s8, v7
	v_addc_co_u32_e32 v18, vcc, v19, v8, vcc
	v_add_co_u32_e32 v19, vcc, s10, v7
	v_addc_co_u32_e32 v20, vcc, v20, v8, vcc
	;; [unrolled: 2-line block ×5, first 2 shown]
	v_lshlrev_b64 v[1:2], 3, v[1:2]
	v_add_co_u32_e32 v9, vcc, s12, v9
	v_addc_co_u32_e32 v10, vcc, v25, v10, vcc
	v_add_co_u32_e32 v25, vcc, s8, v1
	v_addc_co_u32_e32 v26, vcc, v26, v2, vcc
	;; [unrolled: 2-line block ×6, first 2 shown]
	v_lshlrev_b64 v[3:4], 3, v[3:4]
	v_add_co_u32_e32 v11, vcc, s12, v11
	v_addc_co_u32_e32 v12, vcc, v35, v12, vcc
	v_add_co_u32_e32 v35, vcc, s8, v3
	v_addc_co_u32_e32 v36, vcc, v36, v4, vcc
	;; [unrolled: 2-line block ×6, first 2 shown]
	v_lshlrev_b64 v[5:6], 3, v[5:6]
	global_load_dwordx2 v[17:18], v[17:18], off
	s_nop 0
	global_load_dwordx2 v[43:44], v[19:20], off
	global_load_dwordx2 v[45:46], v[7:8], off
	global_load_dwordx2 v[47:48], v[21:22], off
	global_load_dwordx2 v[49:50], v[23:24], off
	v_add_co_u32_e32 v7, vcc, s12, v13
	v_addc_co_u32_e32 v8, vcc, v51, v14, vcc
	global_load_dwordx2 v[13:14], v[9:10], off
	global_load_dwordx2 v[19:20], v[25:26], off
	global_load_dwordx2 v[21:22], v[27:28], off
	global_load_dwordx2 v[23:24], v[1:2], off
	v_add_co_u32_e32 v1, vcc, s8, v5
	v_addc_co_u32_e32 v2, vcc, v52, v6, vcc
	;; [unrolled: 6-line block ×4, first 2 shown]
	global_load_dwordx2 v[5:6], v[7:8], off
	global_load_dwordx2 v[37:38], v[1:2], off
	;; [unrolled: 1-line block ×4, first 2 shown]
	v_rcp_iflag_f32_e32 v3, v58
	v_add_co_u32_e32 v1, vcc, s8, v15
	s_sub_i32 s8, 0, s6
	v_mul_f32_e32 v3, 0x4f7ffffe, v3
	v_cvt_u32_f32_e32 v11, v3
	v_addc_co_u32_e32 v2, vcc, v56, v16, vcc
	v_mov_b32_e32 v4, s11
	v_mul_lo_u32 v3, s8, v11
	v_mov_b32_e32 v8, s13
	global_load_dwordx2 v[1:2], v[1:2], off
	v_mul_hi_u32 v12, v11, v3
	v_add_co_u32_e32 v3, vcc, s10, v15
	v_addc_co_u32_e32 v4, vcc, v4, v16, vcc
	global_load_dwordx2 v[3:4], v[3:4], off
	v_add_co_u32_e32 v7, vcc, s12, v15
	v_addc_co_u32_e32 v8, vcc, v8, v16, vcc
	global_load_dwordx2 v[7:8], v[7:8], off
	v_add_u32_e32 v11, v11, v12
	s_waitcnt vmcnt(24)
	v_sub_u32_e32 v12, 0, v57
	s_abs_i32 s10, s14
	v_max_i32_e32 v55, v57, v12
	v_cvt_f32_u32_e32 v12, s10
	s_waitcnt vmcnt(23)
	buffer_store_dword v18, off, s[0:3], 0 offset:212
	buffer_store_dword v17, off, s[0:3], 0 offset:208
	s_waitcnt vmcnt(24)
	buffer_store_dword v44, off, s[0:3], 0 offset:276
	buffer_store_dword v43, off, s[0:3], 0 offset:272
	;; [unrolled: 3-line block ×22, first 2 shown]
	v_rcp_iflag_f32_e32 v6, v12
	v_mul_hi_u32 v11, v55, v11
	s_sub_i32 s8, 0, s10
	v_xor_b32_e32 v15, s15, v57
	v_mul_f32_e32 v6, 0x4f7ffffe, v6
	v_mul_lo_u32 v16, v11, s6
	v_cvt_u32_f32_e32 v6, v6
	v_add_u32_e32 v5, 1, v11
	v_ashrrev_i32_e32 v1, 31, v15
	v_sub_u32_e32 v2, v55, v16
	v_mul_lo_u32 v10, s8, v6
	v_cmp_le_u32_e32 vcc, s6, v2
	v_subrev_u32_e32 v9, s6, v2
	v_cndmask_b32_e32 v5, v11, v5, vcc
	v_cndmask_b32_e32 v2, v2, v9, vcc
	v_add_u32_e32 v9, 1, v5
	v_cmp_le_u32_e32 vcc, s6, v2
	v_cndmask_b32_e32 v2, v5, v9, vcc
	v_mul_hi_u32 v5, v6, v10
	v_xor_b32_e32 v2, v2, v1
	v_sub_u32_e32 v1, v2, v1
	v_sub_u32_e32 v2, 0, v1
	v_max_i32_e32 v2, v1, v2
	v_add_u32_e32 v5, v6, v5
	v_mul_hi_u32 v5, v2, v5
	s_waitcnt vmcnt(45)
	buffer_store_dword v3, off, s[0:3], 0 offset:328
	buffer_store_dword v4, off, s[0:3], 0 offset:332
	s_waitcnt vmcnt(46)
	buffer_store_dword v7, off, s[0:3], 0 offset:392
	v_ashrrev_i32_e32 v4, 31, v1
	v_mul_lo_u32 v1, v1, s15
	v_mul_lo_u32 v3, v5, s10
	s_load_dwordx2 s[8:9], s[16:17], 0x20
	v_mov_b32_e32 v7, s27
	v_sub_u32_e32 v1, v57, v1
	v_sub_u32_e32 v2, v2, v3
	v_subrev_u32_e32 v3, s10, v2
	v_cmp_le_u32_e32 vcc, s10, v2
	v_cndmask_b32_e32 v2, v2, v3, vcc
	v_subrev_u32_e32 v3, s10, v2
	v_cmp_le_u32_e32 vcc, s10, v2
	v_cndmask_b32_e32 v2, v2, v3, vcc
	v_xor_b32_e32 v2, v2, v4
	v_sub_u32_e32 v5, v2, v4
	v_ashrrev_i32_e32 v2, 31, v1
	v_lshlrev_b64 v[1:2], 3, v[1:2]
	v_ashrrev_i32_e32 v6, 31, v5
	s_waitcnt lgkmcnt(0)
	v_mov_b32_e32 v3, s9
	v_add_co_u32_e32 v1, vcc, s8, v1
	v_lshlrev_b64 v[5:6], 3, v[5:6]
	v_addc_co_u32_e32 v2, vcc, v3, v2, vcc
	v_add_co_u32_e32 v5, vcc, s26, v5
	buffer_store_dword v8, off, s[0:3], 0 offset:396
	v_addc_co_u32_e32 v6, vcc, v7, v6, vcc
	flat_load_dwordx4 v[1:4], v[1:2]
	s_mul_i32 s6, s15, s14
	flat_load_dwordx4 v[5:8], v[5:6]
	s_abs_i32 s10, s6
	v_cvt_f32_u32_e32 v9, s10
	s_sub_i32 s8, 0, s10
	v_xor_b32_e32 v10, s6, v57
	v_ashrrev_i32_e32 v10, 31, v10
	v_rcp_iflag_f32_e32 v9, v9
	v_mov_b32_e32 v39, 8
	v_mov_b32_e32 v40, 0
	v_mul_f32_e32 v9, 0x4f7ffffe, v9
	v_cvt_u32_f32_e32 v9, v9
	s_waitcnt vmcnt(0) lgkmcnt(0)
	v_add_f64 v[11:12], v[3:4], -v[1:2]
	v_mul_lo_u32 v3, s8, v9
	v_add_f64 v[13:14], v[7:8], -v[5:6]
	s_mov_b32 s8, 0x174d6123
	s_mov_b32 s9, 0x2f52f8ac
	v_mul_hi_u32 v7, v9, v3
	v_add_u32_e32 v7, v9, v7
	v_mul_f64 v[3:4], v[11:12], v[13:14]
	v_mul_hi_u32 v7, v55, v7
	v_mov_b32_e32 v9, s25
	v_mul_lo_u32 v8, v7, s10
	v_add_u32_e32 v17, 1, v7
	v_fma_f64 v[15:16], v[3:4], v[3:4], s[8:9]
	v_sub_u32_e32 v8, v55, v8
	v_cmp_le_u32_e32 vcc, s10, v8
	v_cndmask_b32_e32 v7, v7, v17, vcc
	v_subrev_u32_e32 v19, s10, v8
	v_cndmask_b32_e32 v8, v8, v19, vcc
	v_add_u32_e32 v19, 1, v7
	v_cmp_le_u32_e32 vcc, s10, v8
	v_div_scale_f64 v[17:18], s[8:9], v[15:16], v[15:16], v[3:4]
	v_cndmask_b32_e32 v7, v7, v19, vcc
	v_xor_b32_e32 v7, v7, v10
	v_sub_u32_e32 v7, v7, v10
	v_ashrrev_i32_e32 v8, 31, v7
	v_lshlrev_b64 v[7:8], 3, v[7:8]
	v_add_co_u32_e32 v7, vcc, s24, v7
	v_addc_co_u32_e32 v8, vcc, v9, v8, vcc
	flat_load_dwordx4 v[7:10], v[7:8]
	s_mov_b32 s24, 0
	s_mov_b32 s25, 0x3fd00000
	v_rcp_f64_e32 v[19:20], v[17:18]
	v_fma_f64 v[21:22], -v[17:18], v[19:20], 1.0
	v_fma_f64 v[19:20], v[19:20], v[21:22], v[19:20]
	v_div_scale_f64 v[21:22], vcc, v[3:4], v[15:16], v[3:4]
	v_fma_f64 v[23:24], -v[17:18], v[19:20], 1.0
	v_fma_f64 v[19:20], v[19:20], v[23:24], v[19:20]
	v_mul_f64 v[23:24], v[21:22], v[19:20]
	v_fma_f64 v[17:18], -v[17:18], v[23:24], v[21:22]
	v_div_fmas_f64 v[17:18], v[17:18], v[19:20], v[23:24]
	s_waitcnt vmcnt(0) lgkmcnt(0)
	v_add_f64 v[19:20], v[9:10], -v[7:8]
	v_cmp_gt_f64_e32 vcc, v[9:10], v[7:8]
	v_div_fixup_f64 v[9:10], v[17:18], v[15:16], v[3:4]
	v_mov_b32_e32 v15, 0
	buffer_store_dword v15, off, s[0:3], 0 offset:8
	buffer_store_dword v15, off, s[0:3], 0 offset:4
	buffer_store_dword v15, off, s[0:3], 0
	v_cndmask_b32_e32 v36, 0, v20, vcc
	v_cndmask_b32_e32 v35, 0, v19, vcc
	v_mul_f64 v[33:34], v[13:14], v[9:10]
	v_mul_f64 v[31:32], v[11:12], v[9:10]
	s_branch .LBB0_5
.LBB0_2:                                ;   in Loop: Header=BB0_5 Depth=1
	s_or_b64 exec, exec, s[20:21]
.LBB0_3:                                ;   in Loop: Header=BB0_5 Depth=1
	s_or_b64 exec, exec, s[18:19]
	buffer_load_dword v10, v9, s[0:3], 0 offen
	s_waitcnt vmcnt(0)
	v_lshl_or_b32 v10, 8, s7, v10
	buffer_store_dword v10, v9, s[0:3], 0 offen
.LBB0_4:                                ;   in Loop: Header=BB0_5 Depth=1
	s_or_b64 exec, exec, s[26:27]
	s_add_i32 s7, s7, 4
	s_add_u32 s22, s22, 1
	s_addc_u32 s23, s23, 0
	s_cmp_lg_u64 s[22:23], 6
	s_cbranch_scc0 .LBB0_127
.LBB0_5:                                ; =>This Inner Loop Header: Depth=1
	s_cmp_lt_i32 s22, 2
	s_cbranch_scc1 .LBB0_12
; %bb.6:                                ;   in Loop: Header=BB0_5 Depth=1
	s_cmp_gt_i32 s22, 2
	s_cbranch_scc0 .LBB0_13
; %bb.7:                                ;   in Loop: Header=BB0_5 Depth=1
	s_cmp_gt_i32 s22, 3
	s_cbranch_scc0 .LBB0_14
; %bb.8:                                ;   in Loop: Header=BB0_5 Depth=1
	s_cmp_eq_u32 s22, 4
	s_mov_b64 s[8:9], -1
	s_cbranch_scc0 .LBB0_10
; %bb.9:                                ;   in Loop: Header=BB0_5 Depth=1
	s_mov_b64 s[8:9], 0
.LBB0_10:                               ;   in Loop: Header=BB0_5 Depth=1
.LBB0_11:                               ;   in Loop: Header=BB0_5 Depth=1
	s_movk_i32 s17, 0xd0
	s_mov_b32 s14, 0
	s_mov_b32 s13, 1
	;; [unrolled: 1-line block ×7, first 2 shown]
	s_branch .LBB0_16
.LBB0_12:                               ;   in Loop: Header=BB0_5 Depth=1
	s_mov_b64 s[8:9], 0
                                        ; implicit-def: $sgpr6
                                        ; implicit-def: $sgpr15
                                        ; implicit-def: $sgpr12
                                        ; implicit-def: $sgpr16
                                        ; implicit-def: $sgpr13
                                        ; implicit-def: $sgpr18
                                        ; implicit-def: $sgpr14
                                        ; implicit-def: $sgpr17
	s_cbranch_execnz .LBB0_19
	s_branch .LBB0_23
.LBB0_13:                               ;   in Loop: Header=BB0_5 Depth=1
	s_mov_b64 s[8:9], 0
                                        ; implicit-def: $sgpr6
                                        ; implicit-def: $sgpr15
                                        ; implicit-def: $sgpr12
                                        ; implicit-def: $sgpr16
                                        ; implicit-def: $sgpr13
                                        ; implicit-def: $sgpr18
                                        ; implicit-def: $sgpr14
                                        ; implicit-def: $sgpr17
	s_cbranch_execnz .LBB0_17
	s_branch .LBB0_18
.LBB0_14:                               ;   in Loop: Header=BB0_5 Depth=1
	s_mov_b64 s[8:9], 0
	s_cbranch_execz .LBB0_11
; %bb.15:                               ;   in Loop: Header=BB0_5 Depth=1
	s_mov_b32 s14, 2
	s_mov_b32 s13, 3
	s_mov_b32 s12, 7
	s_mov_b32 s6, 6
	s_mov_b32 s15, s36
	s_mov_b32 s16, s39
	s_mov_b32 s18, s34
	s_mov_b32 s17, s37
.LBB0_16:                               ;   in Loop: Header=BB0_5 Depth=1
	s_branch .LBB0_18
.LBB0_17:                               ;   in Loop: Header=BB0_5 Depth=1
	s_movk_i32 s17, 0xd0
	s_mov_b32 s14, 0
	s_mov_b32 s13, 4
	;; [unrolled: 1-line block ×7, first 2 shown]
.LBB0_18:                               ;   in Loop: Header=BB0_5 Depth=1
	s_branch .LBB0_23
.LBB0_19:                               ;   in Loop: Header=BB0_5 Depth=1
	s_cmp_gt_i32 s22, 0
	s_mov_b64 s[10:11], -1
	s_cbranch_scc0 .LBB0_21
; %bb.20:                               ;   in Loop: Header=BB0_5 Depth=1
	s_mov_b64 s[10:11], 0
.LBB0_21:                               ;   in Loop: Header=BB0_5 Depth=1
	s_andn2_b64 vcc, exec, s[10:11]
	s_mov_b32 s14, 1
	s_cbranch_vccnz .LBB0_43
; %bb.22:                               ;   in Loop: Header=BB0_5 Depth=1
	s_cmp_lg_u32 s22, 0
	s_movk_i32 s17, 0xd0
	s_mov_b32 s13, 2
	s_mov_b32 s12, 6
	;; [unrolled: 1-line block ×3, first 2 shown]
	s_cselect_b64 s[8:9], -1, 0
	s_mov_b32 s15, s38
	s_mov_b32 s16, s36
	;; [unrolled: 1-line block ×4, first 2 shown]
.LBB0_23:                               ;   in Loop: Header=BB0_5 Depth=1
	s_and_b64 vcc, exec, s[8:9]
	s_cbranch_vccz .LBB0_25
.LBB0_24:                               ;   in Loop: Header=BB0_5 Depth=1
	s_mov_b32 s6, 5
	s_mov_b32 s12, 7
	s_mov_b32 s13, 6
	s_mov_b32 s14, 4
	s_mov_b32 s17, s38
	s_mov_b32 s18, s36
	s_mov_b32 s16, s39
	s_mov_b32 s15, s33
.LBB0_25:                               ;   in Loop: Header=BB0_5 Depth=1
	v_mov_b32_e32 v17, s17
	v_mov_b32_e32 v18, s18
	buffer_load_dword v9, v17, s[0:3], 0 offen
	buffer_load_dword v10, v17, s[0:3], 0 offen offset:4
	buffer_load_dword v15, v18, s[0:3], 0 offen
	buffer_load_dword v16, v18, s[0:3], 0 offen offset:4
	v_mov_b32_e32 v19, s16
	buffer_load_dword v17, v19, s[0:3], 0 offen
	buffer_load_dword v18, v19, s[0:3], 0 offen offset:4
	v_mov_b32_e32 v21, s15
	buffer_load_dword v19, v21, s[0:3], 0 offen
	buffer_load_dword v20, v21, s[0:3], 0 offen offset:4
	s_waitcnt vmcnt(4)
	v_add_f64 v[21:22], v[9:10], v[15:16]
	v_add_f64 v[9:10], v[9:10], -v[1:2]
	s_waitcnt vmcnt(2)
	v_add_f64 v[17:18], v[21:22], v[17:18]
	v_add_f64 v[21:22], v[15:16], -v[1:2]
	s_waitcnt vmcnt(0)
	v_add_f64 v[17:18], v[17:18], v[19:20]
	v_fma_f64 v[19:20], v[17:18], s[24:25], -v[1:2]
	v_mul_f64 v[17:18], v[33:34], v[9:10]
	v_mul_f64 v[9:10], v[33:34], v[21:22]
	;; [unrolled: 1-line block ×3, first 2 shown]
	v_cmp_ngt_f64_e32 vcc, 0, v[17:18]
	v_cmp_ngt_f64_e64 s[10:11], 0, v[9:10]
	v_cmp_ngt_f64_e64 s[8:9], 0, v[15:16]
	s_or_b64 s[8:9], vcc, s[8:9]
	s_or_b64 s[8:9], s[8:9], s[10:11]
	s_and_saveexec_b64 s[26:27], s[8:9]
	s_cbranch_execz .LBB0_35
; %bb.26:                               ;   in Loop: Header=BB0_5 Depth=1
	v_cmp_nle_f64_e32 vcc, 1.0, v[17:18]
	v_cmp_nle_f64_e64 s[8:9], 1.0, v[15:16]
	v_cmp_nle_f64_e64 s[10:11], 1.0, v[9:10]
	s_or_b64 s[8:9], vcc, s[8:9]
	s_or_b64 s[8:9], s[8:9], s[10:11]
	s_and_b64 exec, exec, s[8:9]
	s_cbranch_execz .LBB0_35
; %bb.27:                               ;   in Loop: Header=BB0_5 Depth=1
	s_lshl_b32 s8, s14, 3
	s_add_i32 s14, s8, 0xd0
	s_lshl_b32 s8, s13, 3
	v_mov_b32_e32 v23, s14
	s_add_i32 s13, s8, 0xd0
	v_mov_b32_e32 v24, s13
	buffer_load_dword v19, v23, s[0:3], 0 offen offset:64
	buffer_load_dword v20, v23, s[0:3], 0 offen offset:68
	;; [unrolled: 1-line block ×4, first 2 shown]
	s_lshl_b32 s8, s12, 3
	s_add_i32 s12, s8, 0xd0
	v_mov_b32_e32 v25, s12
	buffer_load_dword v23, v25, s[0:3], 0 offen offset:64
	buffer_load_dword v24, v25, s[0:3], 0 offen offset:68
	s_lshl_b32 s6, s6, 3
	s_addk_i32 s6, 0xd0
	v_mov_b32_e32 v27, s6
	buffer_load_dword v25, v27, s[0:3], 0 offen offset:64
	buffer_load_dword v26, v27, s[0:3], 0 offen offset:68
	s_waitcnt vmcnt(4)
	v_add_f64 v[27:28], v[19:20], v[21:22]
	v_add_f64 v[19:20], v[19:20], -v[5:6]
	s_waitcnt vmcnt(2)
	v_add_f64 v[23:24], v[27:28], v[23:24]
	v_add_f64 v[27:28], v[21:22], -v[5:6]
	s_waitcnt vmcnt(0)
	v_add_f64 v[23:24], v[23:24], v[25:26]
	v_fma_f64 v[25:26], v[23:24], s[24:25], -v[5:6]
	v_mul_f64 v[23:24], v[31:32], v[19:20]
	v_mul_f64 v[19:20], v[31:32], v[27:28]
	;; [unrolled: 1-line block ×3, first 2 shown]
	v_cmp_ngt_f64_e32 vcc, 0, v[23:24]
	v_cmp_ngt_f64_e64 s[10:11], 0, v[19:20]
	v_cmp_ngt_f64_e64 s[8:9], 0, v[21:22]
	s_or_b64 s[8:9], vcc, s[8:9]
	s_or_b64 s[8:9], s[8:9], s[10:11]
	s_and_b64 exec, exec, s[8:9]
	s_cbranch_execz .LBB0_35
; %bb.28:                               ;   in Loop: Header=BB0_5 Depth=1
	v_cmp_nle_f64_e32 vcc, 1.0, v[23:24]
	v_cmp_nle_f64_e64 s[8:9], 1.0, v[21:22]
	v_cmp_nle_f64_e64 s[10:11], 1.0, v[19:20]
	s_or_b64 s[8:9], vcc, s[8:9]
	s_or_b64 s[8:9], s[8:9], s[10:11]
	s_and_b64 exec, exec, s[8:9]
	s_cbranch_execz .LBB0_35
; %bb.29:                               ;   in Loop: Header=BB0_5 Depth=1
	v_mov_b32_e32 v27, s14
	v_mov_b32_e32 v28, s13
	buffer_load_dword v25, v27, s[0:3], 0 offen offset:128
	buffer_load_dword v26, v27, s[0:3], 0 offen offset:132
	;; [unrolled: 1-line block ×4, first 2 shown]
	v_mov_b32_e32 v37, s12
	buffer_load_dword v27, v37, s[0:3], 0 offen offset:128
	buffer_load_dword v28, v37, s[0:3], 0 offen offset:132
	v_mov_b32_e32 v43, s6
	buffer_load_dword v37, v43, s[0:3], 0 offen offset:128
	buffer_load_dword v38, v43, s[0:3], 0 offen offset:132
	s_waitcnt vmcnt(4)
	v_add_f64 v[43:44], v[25:26], v[41:42]
	s_waitcnt vmcnt(2)
	v_add_f64 v[27:28], v[43:44], v[27:28]
	;; [unrolled: 2-line block ×3, first 2 shown]
	v_add_f64 v[37:38], v[25:26], -v[7:8]
	v_add_f64 v[25:26], v[41:42], -v[7:8]
	v_fma_f64 v[27:28], v[27:28], s[24:25], -v[7:8]
	v_cmp_ngt_f64_e32 vcc, 0, v[37:38]
	v_cmp_ngt_f64_e64 s[10:11], 0, v[25:26]
	v_cmp_ngt_f64_e64 s[8:9], 0, v[27:28]
	s_or_b64 s[8:9], vcc, s[8:9]
	s_or_b64 s[8:9], s[8:9], s[10:11]
	s_and_b64 exec, exec, s[8:9]
	s_cbranch_execz .LBB0_35
; %bb.30:                               ;   in Loop: Header=BB0_5 Depth=1
	v_cmp_le_f64_e32 vcc, 0, v[17:18]
	v_cmp_le_f64_e64 s[8:9], 0, v[15:16]
	v_cmp_le_f64_e64 s[10:11], 0, v[9:10]
	v_cmp_gt_f64_e64 s[12:13], 1.0, v[17:18]
	v_cmp_gt_f64_e64 s[14:15], 1.0, v[15:16]
	;; [unrolled: 1-line block ×3, first 2 shown]
	v_cmp_le_f64_e64 s[18:19], 0, v[23:24]
	v_cmp_le_f64_e64 s[20:21], 0, v[21:22]
	v_mov_b32_e32 v9, 8
	s_and_b64 s[8:9], vcc, s[8:9]
	s_and_b64 s[8:9], s[8:9], s[10:11]
	v_cmp_le_f64_e32 vcc, 0, v[19:20]
	s_and_b64 s[28:29], s[12:13], s[8:9]
	v_cmp_gt_f64_e64 s[8:9], 1.0, v[23:24]
	v_cmp_gt_f64_e64 s[10:11], 1.0, v[21:22]
	v_cmp_gt_f64_e64 s[12:13], 1.0, v[19:20]
	s_and_b64 s[14:15], s[28:29], s[14:15]
	s_and_b64 s[14:15], s[14:15], s[16:17]
	;; [unrolled: 1-line block ×4, first 2 shown]
	s_and_b64 s[14:15], s[14:15], vcc
	s_and_b64 s[8:9], s[8:9], s[14:15]
	s_and_b64 s[8:9], s[8:9], s[10:11]
	;; [unrolled: 1-line block ×3, first 2 shown]
	s_and_saveexec_b64 s[18:19], s[8:9]
	s_cbranch_execz .LBB0_34
; %bb.31:                               ;   in Loop: Header=BB0_5 Depth=1
	v_cmp_nge_f64_e32 vcc, v[37:38], v[35:36]
	v_cmp_nge_f64_e64 s[8:9], v[27:28], v[35:36]
	v_cmp_nge_f64_e64 s[10:11], v[25:26], v[35:36]
	v_mov_b32_e32 v9, 4
	s_or_b64 s[8:9], vcc, s[8:9]
	s_or_b64 s[8:9], s[8:9], s[10:11]
	s_and_saveexec_b64 s[20:21], s[8:9]
	s_cbranch_execz .LBB0_33
; %bb.32:                               ;   in Loop: Header=BB0_5 Depth=1
	v_cmp_le_f64_e32 vcc, 0, v[37:38]
	v_cmp_le_f64_e64 s[8:9], 0, v[27:28]
	v_cmp_le_f64_e64 s[10:11], 0, v[25:26]
	v_cmp_lt_f64_e64 s[12:13], v[37:38], v[35:36]
	v_cmp_lt_f64_e64 s[14:15], v[27:28], v[35:36]
	;; [unrolled: 1-line block ×3, first 2 shown]
	s_and_b64 s[8:9], vcc, s[8:9]
	s_and_b64 s[8:9], s[8:9], s[10:11]
	s_and_b64 s[8:9], s[12:13], s[8:9]
	;; [unrolled: 1-line block ×3, first 2 shown]
	s_and_b64 vcc, s[8:9], s[16:17]
	v_cndmask_b32_e32 v9, v39, v40, vcc
.LBB0_33:                               ;   in Loop: Header=BB0_5 Depth=1
	s_or_b64 exec, exec, s[20:21]
.LBB0_34:                               ;   in Loop: Header=BB0_5 Depth=1
	s_or_b64 exec, exec, s[18:19]
	buffer_load_dword v10, v9, s[0:3], 0 offen
	s_waitcnt vmcnt(0)
	v_lshl_or_b32 v10, 1, s7, v10
	buffer_store_dword v10, v9, s[0:3], 0 offen
.LBB0_35:                               ;   in Loop: Header=BB0_5 Depth=1
	s_or_b64 exec, exec, s[26:27]
	s_cmp_lt_i32 s22, 2
	s_cbranch_scc1 .LBB0_42
; %bb.36:                               ;   in Loop: Header=BB0_5 Depth=1
	s_cmp_gt_i32 s22, 2
	s_cbranch_scc0 .LBB0_44
; %bb.37:                               ;   in Loop: Header=BB0_5 Depth=1
	s_cmp_gt_i32 s22, 3
	s_cbranch_scc0 .LBB0_45
; %bb.38:                               ;   in Loop: Header=BB0_5 Depth=1
	s_cmp_eq_u32 s22, 4
	s_mov_b64 s[8:9], -1
	s_cbranch_scc0 .LBB0_40
; %bb.39:                               ;   in Loop: Header=BB0_5 Depth=1
	s_mov_b64 s[8:9], 0
.LBB0_40:                               ;   in Loop: Header=BB0_5 Depth=1
.LBB0_41:                               ;   in Loop: Header=BB0_5 Depth=1
	s_movk_i32 s17, 0xd0
	s_mov_b32 s14, 0
	s_mov_b32 s13, 1
	;; [unrolled: 1-line block ×7, first 2 shown]
	s_branch .LBB0_47
.LBB0_42:                               ;   in Loop: Header=BB0_5 Depth=1
	s_mov_b64 s[8:9], 0
                                        ; implicit-def: $sgpr6
                                        ; implicit-def: $sgpr15
                                        ; implicit-def: $sgpr12
                                        ; implicit-def: $sgpr16
                                        ; implicit-def: $sgpr13
                                        ; implicit-def: $sgpr18
                                        ; implicit-def: $sgpr14
                                        ; implicit-def: $sgpr17
	s_cbranch_execnz .LBB0_50
	s_branch .LBB0_54
.LBB0_43:                               ;   in Loop: Header=BB0_5 Depth=1
	s_mov_b32 s13, 5
	s_mov_b32 s12, 7
	;; [unrolled: 1-line block ×7, first 2 shown]
	s_and_b64 vcc, exec, s[8:9]
	s_cbranch_vccnz .LBB0_24
	s_branch .LBB0_25
.LBB0_44:                               ;   in Loop: Header=BB0_5 Depth=1
	s_mov_b64 s[8:9], 0
                                        ; implicit-def: $sgpr6
                                        ; implicit-def: $sgpr15
                                        ; implicit-def: $sgpr12
                                        ; implicit-def: $sgpr16
                                        ; implicit-def: $sgpr13
                                        ; implicit-def: $sgpr18
                                        ; implicit-def: $sgpr14
                                        ; implicit-def: $sgpr17
	s_cbranch_execnz .LBB0_48
	s_branch .LBB0_49
.LBB0_45:                               ;   in Loop: Header=BB0_5 Depth=1
	s_mov_b64 s[8:9], 0
	s_cbranch_execz .LBB0_41
; %bb.46:                               ;   in Loop: Header=BB0_5 Depth=1
	s_mov_b32 s14, 2
	s_mov_b32 s13, 3
	;; [unrolled: 1-line block ×8, first 2 shown]
.LBB0_47:                               ;   in Loop: Header=BB0_5 Depth=1
	s_branch .LBB0_49
.LBB0_48:                               ;   in Loop: Header=BB0_5 Depth=1
	s_movk_i32 s17, 0xd0
	s_mov_b32 s14, 0
	s_mov_b32 s13, 4
	;; [unrolled: 1-line block ×7, first 2 shown]
.LBB0_49:                               ;   in Loop: Header=BB0_5 Depth=1
	s_branch .LBB0_54
.LBB0_50:                               ;   in Loop: Header=BB0_5 Depth=1
	s_cmp_gt_i32 s22, 0
	s_mov_b64 s[10:11], -1
	s_cbranch_scc0 .LBB0_52
; %bb.51:                               ;   in Loop: Header=BB0_5 Depth=1
	s_mov_b64 s[10:11], 0
.LBB0_52:                               ;   in Loop: Header=BB0_5 Depth=1
	s_andn2_b64 vcc, exec, s[10:11]
	s_mov_b32 s14, 1
	s_cbranch_vccnz .LBB0_74
; %bb.53:                               ;   in Loop: Header=BB0_5 Depth=1
	s_cmp_lg_u32 s22, 0
	s_movk_i32 s17, 0xd0
	s_mov_b32 s13, 2
	s_mov_b32 s12, 6
	s_mov_b32 s6, 4
	s_cselect_b64 s[8:9], -1, 0
	s_mov_b32 s15, s38
	s_mov_b32 s16, s36
	s_mov_b32 s18, s37
	s_mov_b32 s14, s22
.LBB0_54:                               ;   in Loop: Header=BB0_5 Depth=1
	s_and_b64 vcc, exec, s[8:9]
	s_cbranch_vccz .LBB0_56
.LBB0_55:                               ;   in Loop: Header=BB0_5 Depth=1
	s_mov_b32 s6, 5
	s_mov_b32 s12, 7
	;; [unrolled: 1-line block ×8, first 2 shown]
.LBB0_56:                               ;   in Loop: Header=BB0_5 Depth=1
	v_mov_b32_e32 v17, s17
	v_mov_b32_e32 v18, s18
	buffer_load_dword v9, v17, s[0:3], 0 offen
	buffer_load_dword v10, v17, s[0:3], 0 offen offset:4
	buffer_load_dword v15, v18, s[0:3], 0 offen
	buffer_load_dword v16, v18, s[0:3], 0 offen offset:4
	v_mov_b32_e32 v19, s16
	buffer_load_dword v17, v19, s[0:3], 0 offen
	buffer_load_dword v18, v19, s[0:3], 0 offen offset:4
	v_mov_b32_e32 v21, s15
	buffer_load_dword v19, v21, s[0:3], 0 offen
	buffer_load_dword v20, v21, s[0:3], 0 offen offset:4
	s_waitcnt vmcnt(4)
	v_add_f64 v[9:10], v[9:10], v[15:16]
	v_add_f64 v[15:16], v[15:16], -v[1:2]
	s_waitcnt vmcnt(2)
	v_add_f64 v[9:10], v[9:10], v[17:18]
	s_waitcnt vmcnt(0)
	v_add_f64 v[9:10], v[9:10], v[19:20]
	v_add_f64 v[19:20], v[17:18], -v[1:2]
	v_mul_f64 v[17:18], v[33:34], v[15:16]
	v_fma_f64 v[9:10], v[9:10], s[24:25], -v[1:2]
	v_cmp_ngt_f64_e32 vcc, 0, v[17:18]
	v_mul_f64 v[15:16], v[33:34], v[9:10]
	v_mul_f64 v[9:10], v[33:34], v[19:20]
	v_cmp_ngt_f64_e64 s[8:9], 0, v[15:16]
	v_cmp_ngt_f64_e64 s[10:11], 0, v[9:10]
	s_or_b64 s[8:9], vcc, s[8:9]
	s_or_b64 s[8:9], s[8:9], s[10:11]
	s_and_saveexec_b64 s[26:27], s[8:9]
	s_cbranch_execz .LBB0_66
; %bb.57:                               ;   in Loop: Header=BB0_5 Depth=1
	v_cmp_nle_f64_e32 vcc, 1.0, v[17:18]
	v_cmp_nle_f64_e64 s[8:9], 1.0, v[15:16]
	v_cmp_nle_f64_e64 s[10:11], 1.0, v[9:10]
	s_or_b64 s[8:9], vcc, s[8:9]
	s_or_b64 s[8:9], s[8:9], s[10:11]
	s_and_b64 exec, exec, s[8:9]
	s_cbranch_execz .LBB0_66
; %bb.58:                               ;   in Loop: Header=BB0_5 Depth=1
	s_lshl_b32 s8, s14, 3
	s_add_i32 s14, s8, 0xd0
	s_lshl_b32 s8, s13, 3
	v_mov_b32_e32 v23, s14
	s_add_i32 s13, s8, 0xd0
	v_mov_b32_e32 v24, s13
	buffer_load_dword v19, v23, s[0:3], 0 offen offset:64
	buffer_load_dword v20, v23, s[0:3], 0 offen offset:68
	;; [unrolled: 1-line block ×4, first 2 shown]
	s_lshl_b32 s8, s12, 3
	s_add_i32 s12, s8, 0xd0
	v_mov_b32_e32 v25, s12
	buffer_load_dword v23, v25, s[0:3], 0 offen offset:64
	buffer_load_dword v24, v25, s[0:3], 0 offen offset:68
	s_lshl_b32 s6, s6, 3
	s_addk_i32 s6, 0xd0
	v_mov_b32_e32 v27, s6
	buffer_load_dword v25, v27, s[0:3], 0 offen offset:64
	buffer_load_dword v26, v27, s[0:3], 0 offen offset:68
	s_waitcnt vmcnt(4)
	v_add_f64 v[19:20], v[19:20], v[21:22]
	v_add_f64 v[21:22], v[21:22], -v[5:6]
	s_waitcnt vmcnt(2)
	v_add_f64 v[19:20], v[19:20], v[23:24]
	s_waitcnt vmcnt(0)
	v_add_f64 v[19:20], v[19:20], v[25:26]
	v_add_f64 v[25:26], v[23:24], -v[5:6]
	v_mul_f64 v[23:24], v[31:32], v[21:22]
	v_fma_f64 v[19:20], v[19:20], s[24:25], -v[5:6]
	v_cmp_ngt_f64_e32 vcc, 0, v[23:24]
	v_mul_f64 v[21:22], v[31:32], v[19:20]
	v_mul_f64 v[19:20], v[31:32], v[25:26]
	v_cmp_ngt_f64_e64 s[8:9], 0, v[21:22]
	v_cmp_ngt_f64_e64 s[10:11], 0, v[19:20]
	s_or_b64 s[8:9], vcc, s[8:9]
	s_or_b64 s[8:9], s[8:9], s[10:11]
	s_and_b64 exec, exec, s[8:9]
	s_cbranch_execz .LBB0_66
; %bb.59:                               ;   in Loop: Header=BB0_5 Depth=1
	v_cmp_nle_f64_e32 vcc, 1.0, v[23:24]
	v_cmp_nle_f64_e64 s[8:9], 1.0, v[21:22]
	v_cmp_nle_f64_e64 s[10:11], 1.0, v[19:20]
	s_or_b64 s[8:9], vcc, s[8:9]
	s_or_b64 s[8:9], s[8:9], s[10:11]
	s_and_b64 exec, exec, s[8:9]
	s_cbranch_execz .LBB0_66
; %bb.60:                               ;   in Loop: Header=BB0_5 Depth=1
	v_mov_b32_e32 v37, s14
	v_mov_b32_e32 v38, s13
	buffer_load_dword v25, v37, s[0:3], 0 offen offset:128
	buffer_load_dword v26, v37, s[0:3], 0 offen offset:132
	;; [unrolled: 1-line block ×4, first 2 shown]
	v_mov_b32_e32 v37, s12
	buffer_load_dword v41, v37, s[0:3], 0 offen offset:128
	buffer_load_dword v42, v37, s[0:3], 0 offen offset:132
	v_mov_b32_e32 v43, s6
	buffer_load_dword v37, v43, s[0:3], 0 offen offset:128
	buffer_load_dword v38, v43, s[0:3], 0 offen offset:132
	s_waitcnt vmcnt(4)
	v_add_f64 v[25:26], v[25:26], v[27:28]
	s_waitcnt vmcnt(2)
	v_add_f64 v[25:26], v[25:26], v[41:42]
	;; [unrolled: 2-line block ×3, first 2 shown]
	v_add_f64 v[37:38], v[27:28], -v[7:8]
	v_fma_f64 v[27:28], v[25:26], s[24:25], -v[7:8]
	v_add_f64 v[25:26], v[41:42], -v[7:8]
	v_cmp_ngt_f64_e32 vcc, 0, v[37:38]
	v_cmp_ngt_f64_e64 s[8:9], 0, v[27:28]
	v_cmp_ngt_f64_e64 s[10:11], 0, v[25:26]
	s_or_b64 s[8:9], vcc, s[8:9]
	s_or_b64 s[8:9], s[8:9], s[10:11]
	s_and_b64 exec, exec, s[8:9]
	s_cbranch_execz .LBB0_66
; %bb.61:                               ;   in Loop: Header=BB0_5 Depth=1
	v_cmp_le_f64_e32 vcc, 0, v[17:18]
	v_cmp_le_f64_e64 s[8:9], 0, v[15:16]
	v_cmp_le_f64_e64 s[10:11], 0, v[9:10]
	v_cmp_gt_f64_e64 s[12:13], 1.0, v[17:18]
	v_cmp_gt_f64_e64 s[14:15], 1.0, v[15:16]
	;; [unrolled: 1-line block ×3, first 2 shown]
	v_cmp_le_f64_e64 s[18:19], 0, v[23:24]
	v_cmp_le_f64_e64 s[20:21], 0, v[21:22]
	v_mov_b32_e32 v9, 8
	s_and_b64 s[8:9], vcc, s[8:9]
	s_and_b64 s[8:9], s[8:9], s[10:11]
	v_cmp_le_f64_e32 vcc, 0, v[19:20]
	s_and_b64 s[28:29], s[12:13], s[8:9]
	v_cmp_gt_f64_e64 s[8:9], 1.0, v[23:24]
	v_cmp_gt_f64_e64 s[10:11], 1.0, v[21:22]
	;; [unrolled: 1-line block ×3, first 2 shown]
	s_and_b64 s[14:15], s[28:29], s[14:15]
	s_and_b64 s[14:15], s[14:15], s[16:17]
	;; [unrolled: 1-line block ×4, first 2 shown]
	s_and_b64 s[14:15], s[14:15], vcc
	s_and_b64 s[8:9], s[8:9], s[14:15]
	s_and_b64 s[8:9], s[8:9], s[10:11]
	;; [unrolled: 1-line block ×3, first 2 shown]
	s_and_saveexec_b64 s[18:19], s[8:9]
	s_cbranch_execz .LBB0_65
; %bb.62:                               ;   in Loop: Header=BB0_5 Depth=1
	v_cmp_nge_f64_e32 vcc, v[37:38], v[35:36]
	v_cmp_nge_f64_e64 s[8:9], v[27:28], v[35:36]
	v_cmp_nge_f64_e64 s[10:11], v[25:26], v[35:36]
	v_mov_b32_e32 v9, 4
	s_or_b64 s[8:9], vcc, s[8:9]
	s_or_b64 s[8:9], s[8:9], s[10:11]
	s_and_saveexec_b64 s[20:21], s[8:9]
	s_cbranch_execz .LBB0_64
; %bb.63:                               ;   in Loop: Header=BB0_5 Depth=1
	v_cmp_le_f64_e32 vcc, 0, v[37:38]
	v_cmp_le_f64_e64 s[8:9], 0, v[27:28]
	v_cmp_le_f64_e64 s[10:11], 0, v[25:26]
	v_cmp_lt_f64_e64 s[12:13], v[37:38], v[35:36]
	v_cmp_lt_f64_e64 s[14:15], v[27:28], v[35:36]
	;; [unrolled: 1-line block ×3, first 2 shown]
	s_and_b64 s[8:9], vcc, s[8:9]
	s_and_b64 s[8:9], s[8:9], s[10:11]
	s_and_b64 s[8:9], s[12:13], s[8:9]
	;; [unrolled: 1-line block ×3, first 2 shown]
	s_and_b64 vcc, s[8:9], s[16:17]
	v_cndmask_b32_e32 v9, v39, v40, vcc
.LBB0_64:                               ;   in Loop: Header=BB0_5 Depth=1
	s_or_b64 exec, exec, s[20:21]
.LBB0_65:                               ;   in Loop: Header=BB0_5 Depth=1
	s_or_b64 exec, exec, s[18:19]
	buffer_load_dword v10, v9, s[0:3], 0 offen
	s_waitcnt vmcnt(0)
	v_lshl_or_b32 v10, 2, s7, v10
	buffer_store_dword v10, v9, s[0:3], 0 offen
.LBB0_66:                               ;   in Loop: Header=BB0_5 Depth=1
	s_or_b64 exec, exec, s[26:27]
	s_cmp_lt_i32 s22, 2
	s_cbranch_scc1 .LBB0_73
; %bb.67:                               ;   in Loop: Header=BB0_5 Depth=1
	s_cmp_gt_i32 s22, 2
	s_cbranch_scc0 .LBB0_75
; %bb.68:                               ;   in Loop: Header=BB0_5 Depth=1
	s_cmp_gt_i32 s22, 3
	s_cbranch_scc0 .LBB0_76
; %bb.69:                               ;   in Loop: Header=BB0_5 Depth=1
	s_cmp_eq_u32 s22, 4
	s_mov_b64 s[8:9], -1
	s_cbranch_scc0 .LBB0_71
; %bb.70:                               ;   in Loop: Header=BB0_5 Depth=1
	s_mov_b64 s[8:9], 0
.LBB0_71:                               ;   in Loop: Header=BB0_5 Depth=1
.LBB0_72:                               ;   in Loop: Header=BB0_5 Depth=1
	s_movk_i32 s17, 0xd0
	s_mov_b32 s14, 0
	s_mov_b32 s13, 1
	;; [unrolled: 1-line block ×7, first 2 shown]
	s_branch .LBB0_78
.LBB0_73:                               ;   in Loop: Header=BB0_5 Depth=1
	s_mov_b64 s[8:9], 0
                                        ; implicit-def: $sgpr6
                                        ; implicit-def: $sgpr15
                                        ; implicit-def: $sgpr12
                                        ; implicit-def: $sgpr16
                                        ; implicit-def: $sgpr13
                                        ; implicit-def: $sgpr18
                                        ; implicit-def: $sgpr14
                                        ; implicit-def: $sgpr17
	s_cbranch_execnz .LBB0_81
	s_branch .LBB0_85
.LBB0_74:                               ;   in Loop: Header=BB0_5 Depth=1
	s_mov_b32 s13, 5
	s_mov_b32 s12, 7
	;; [unrolled: 1-line block ×7, first 2 shown]
	s_and_b64 vcc, exec, s[8:9]
	s_cbranch_vccnz .LBB0_55
	s_branch .LBB0_56
.LBB0_75:                               ;   in Loop: Header=BB0_5 Depth=1
	s_mov_b64 s[8:9], 0
                                        ; implicit-def: $sgpr6
                                        ; implicit-def: $sgpr15
                                        ; implicit-def: $sgpr12
                                        ; implicit-def: $sgpr16
                                        ; implicit-def: $sgpr13
                                        ; implicit-def: $sgpr18
                                        ; implicit-def: $sgpr14
                                        ; implicit-def: $sgpr17
	s_cbranch_execnz .LBB0_79
	s_branch .LBB0_80
.LBB0_76:                               ;   in Loop: Header=BB0_5 Depth=1
	s_mov_b64 s[8:9], 0
	s_cbranch_execz .LBB0_72
; %bb.77:                               ;   in Loop: Header=BB0_5 Depth=1
	s_mov_b32 s14, 2
	s_mov_b32 s13, 3
	;; [unrolled: 1-line block ×8, first 2 shown]
.LBB0_78:                               ;   in Loop: Header=BB0_5 Depth=1
	s_branch .LBB0_80
.LBB0_79:                               ;   in Loop: Header=BB0_5 Depth=1
	s_movk_i32 s17, 0xd0
	s_mov_b32 s14, 0
	s_mov_b32 s13, 4
	;; [unrolled: 1-line block ×7, first 2 shown]
.LBB0_80:                               ;   in Loop: Header=BB0_5 Depth=1
	s_branch .LBB0_85
.LBB0_81:                               ;   in Loop: Header=BB0_5 Depth=1
	s_cmp_gt_i32 s22, 0
	s_mov_b64 s[10:11], -1
	s_cbranch_scc0 .LBB0_83
; %bb.82:                               ;   in Loop: Header=BB0_5 Depth=1
	s_mov_b64 s[10:11], 0
.LBB0_83:                               ;   in Loop: Header=BB0_5 Depth=1
	s_andn2_b64 vcc, exec, s[10:11]
	s_mov_b32 s14, 1
	s_cbranch_vccnz .LBB0_105
; %bb.84:                               ;   in Loop: Header=BB0_5 Depth=1
	s_cmp_lg_u32 s22, 0
	s_movk_i32 s17, 0xd0
	s_mov_b32 s13, 2
	s_mov_b32 s12, 6
	;; [unrolled: 1-line block ×3, first 2 shown]
	s_cselect_b64 s[8:9], -1, 0
	s_mov_b32 s15, s38
	s_mov_b32 s16, s36
	;; [unrolled: 1-line block ×4, first 2 shown]
.LBB0_85:                               ;   in Loop: Header=BB0_5 Depth=1
	s_and_b64 vcc, exec, s[8:9]
	s_cbranch_vccz .LBB0_87
.LBB0_86:                               ;   in Loop: Header=BB0_5 Depth=1
	s_mov_b32 s6, 5
	s_mov_b32 s12, 7
	;; [unrolled: 1-line block ×8, first 2 shown]
.LBB0_87:                               ;   in Loop: Header=BB0_5 Depth=1
	v_mov_b32_e32 v17, s17
	v_mov_b32_e32 v18, s18
	buffer_load_dword v9, v17, s[0:3], 0 offen
	buffer_load_dword v10, v17, s[0:3], 0 offen offset:4
	buffer_load_dword v15, v18, s[0:3], 0 offen
	buffer_load_dword v16, v18, s[0:3], 0 offen offset:4
	v_mov_b32_e32 v19, s16
	buffer_load_dword v17, v19, s[0:3], 0 offen
	buffer_load_dword v18, v19, s[0:3], 0 offen offset:4
	v_mov_b32_e32 v21, s15
	buffer_load_dword v19, v21, s[0:3], 0 offen
	buffer_load_dword v20, v21, s[0:3], 0 offen offset:4
	s_waitcnt vmcnt(4)
	v_add_f64 v[9:10], v[9:10], v[15:16]
	s_waitcnt vmcnt(2)
	v_add_f64 v[15:16], v[17:18], -v[1:2]
	v_add_f64 v[9:10], v[9:10], v[17:18]
	v_mul_f64 v[17:18], v[33:34], v[15:16]
	s_waitcnt vmcnt(0)
	v_add_f64 v[9:10], v[9:10], v[19:20]
	v_add_f64 v[19:20], v[19:20], -v[1:2]
	v_cmp_ngt_f64_e32 vcc, 0, v[17:18]
	v_fma_f64 v[9:10], v[9:10], s[24:25], -v[1:2]
	v_mul_f64 v[15:16], v[33:34], v[9:10]
	v_mul_f64 v[9:10], v[33:34], v[19:20]
	v_cmp_ngt_f64_e64 s[8:9], 0, v[15:16]
	v_cmp_ngt_f64_e64 s[10:11], 0, v[9:10]
	s_or_b64 s[8:9], vcc, s[8:9]
	s_or_b64 s[8:9], s[8:9], s[10:11]
	s_and_saveexec_b64 s[26:27], s[8:9]
	s_cbranch_execz .LBB0_97
; %bb.88:                               ;   in Loop: Header=BB0_5 Depth=1
	v_cmp_nle_f64_e32 vcc, 1.0, v[17:18]
	v_cmp_nle_f64_e64 s[8:9], 1.0, v[15:16]
	v_cmp_nle_f64_e64 s[10:11], 1.0, v[9:10]
	s_or_b64 s[8:9], vcc, s[8:9]
	s_or_b64 s[8:9], s[8:9], s[10:11]
	s_and_b64 exec, exec, s[8:9]
	s_cbranch_execz .LBB0_97
; %bb.89:                               ;   in Loop: Header=BB0_5 Depth=1
	s_lshl_b32 s8, s14, 3
	s_add_i32 s14, s8, 0xd0
	s_lshl_b32 s8, s13, 3
	v_mov_b32_e32 v23, s14
	s_add_i32 s13, s8, 0xd0
	v_mov_b32_e32 v24, s13
	buffer_load_dword v19, v23, s[0:3], 0 offen offset:64
	buffer_load_dword v20, v23, s[0:3], 0 offen offset:68
	;; [unrolled: 1-line block ×4, first 2 shown]
	s_lshl_b32 s8, s12, 3
	s_add_i32 s12, s8, 0xd0
	v_mov_b32_e32 v25, s12
	buffer_load_dword v23, v25, s[0:3], 0 offen offset:64
	buffer_load_dword v24, v25, s[0:3], 0 offen offset:68
	s_lshl_b32 s6, s6, 3
	s_addk_i32 s6, 0xd0
	v_mov_b32_e32 v27, s6
	buffer_load_dword v25, v27, s[0:3], 0 offen offset:64
	buffer_load_dword v26, v27, s[0:3], 0 offen offset:68
	s_waitcnt vmcnt(4)
	v_add_f64 v[19:20], v[19:20], v[21:22]
	s_waitcnt vmcnt(2)
	v_add_f64 v[21:22], v[23:24], -v[5:6]
	v_add_f64 v[19:20], v[19:20], v[23:24]
	v_mul_f64 v[23:24], v[31:32], v[21:22]
	s_waitcnt vmcnt(0)
	v_add_f64 v[19:20], v[19:20], v[25:26]
	v_add_f64 v[25:26], v[25:26], -v[5:6]
	v_cmp_ngt_f64_e32 vcc, 0, v[23:24]
	v_fma_f64 v[19:20], v[19:20], s[24:25], -v[5:6]
	v_mul_f64 v[21:22], v[31:32], v[19:20]
	v_mul_f64 v[19:20], v[31:32], v[25:26]
	v_cmp_ngt_f64_e64 s[8:9], 0, v[21:22]
	v_cmp_ngt_f64_e64 s[10:11], 0, v[19:20]
	s_or_b64 s[8:9], vcc, s[8:9]
	s_or_b64 s[8:9], s[8:9], s[10:11]
	s_and_b64 exec, exec, s[8:9]
	s_cbranch_execz .LBB0_97
; %bb.90:                               ;   in Loop: Header=BB0_5 Depth=1
	v_cmp_nle_f64_e32 vcc, 1.0, v[23:24]
	v_cmp_nle_f64_e64 s[8:9], 1.0, v[21:22]
	v_cmp_nle_f64_e64 s[10:11], 1.0, v[19:20]
	s_or_b64 s[8:9], vcc, s[8:9]
	s_or_b64 s[8:9], s[8:9], s[10:11]
	s_and_b64 exec, exec, s[8:9]
	s_cbranch_execz .LBB0_97
; %bb.91:                               ;   in Loop: Header=BB0_5 Depth=1
	v_mov_b32_e32 v37, s14
	v_mov_b32_e32 v38, s13
	buffer_load_dword v25, v37, s[0:3], 0 offen offset:128
	buffer_load_dword v26, v37, s[0:3], 0 offen offset:132
	;; [unrolled: 1-line block ×4, first 2 shown]
	v_mov_b32_e32 v41, s12
	buffer_load_dword v37, v41, s[0:3], 0 offen offset:128
	buffer_load_dword v38, v41, s[0:3], 0 offen offset:132
	v_mov_b32_e32 v43, s6
	buffer_load_dword v41, v43, s[0:3], 0 offen offset:128
	buffer_load_dword v42, v43, s[0:3], 0 offen offset:132
	s_waitcnt vmcnt(4)
	v_add_f64 v[25:26], v[25:26], v[27:28]
	s_waitcnt vmcnt(2)
	v_add_f64 v[25:26], v[25:26], v[37:38]
	v_add_f64 v[37:38], v[37:38], -v[7:8]
	s_waitcnt vmcnt(0)
	v_add_f64 v[25:26], v[25:26], v[41:42]
	v_cmp_ngt_f64_e32 vcc, 0, v[37:38]
	v_fma_f64 v[27:28], v[25:26], s[24:25], -v[7:8]
	v_add_f64 v[25:26], v[41:42], -v[7:8]
	v_cmp_ngt_f64_e64 s[8:9], 0, v[27:28]
	v_cmp_ngt_f64_e64 s[10:11], 0, v[25:26]
	s_or_b64 s[8:9], vcc, s[8:9]
	s_or_b64 s[8:9], s[8:9], s[10:11]
	s_and_b64 exec, exec, s[8:9]
	s_cbranch_execz .LBB0_97
; %bb.92:                               ;   in Loop: Header=BB0_5 Depth=1
	v_cmp_le_f64_e32 vcc, 0, v[17:18]
	v_cmp_le_f64_e64 s[8:9], 0, v[15:16]
	v_cmp_le_f64_e64 s[10:11], 0, v[9:10]
	v_cmp_gt_f64_e64 s[12:13], 1.0, v[17:18]
	v_cmp_gt_f64_e64 s[14:15], 1.0, v[15:16]
	;; [unrolled: 1-line block ×3, first 2 shown]
	v_cmp_le_f64_e64 s[18:19], 0, v[23:24]
	v_cmp_le_f64_e64 s[20:21], 0, v[21:22]
	v_mov_b32_e32 v9, 8
	s_and_b64 s[8:9], vcc, s[8:9]
	s_and_b64 s[8:9], s[8:9], s[10:11]
	v_cmp_le_f64_e32 vcc, 0, v[19:20]
	s_and_b64 s[28:29], s[12:13], s[8:9]
	v_cmp_gt_f64_e64 s[8:9], 1.0, v[23:24]
	v_cmp_gt_f64_e64 s[10:11], 1.0, v[21:22]
	;; [unrolled: 1-line block ×3, first 2 shown]
	s_and_b64 s[14:15], s[28:29], s[14:15]
	s_and_b64 s[14:15], s[14:15], s[16:17]
	;; [unrolled: 1-line block ×4, first 2 shown]
	s_and_b64 s[14:15], s[14:15], vcc
	s_and_b64 s[8:9], s[8:9], s[14:15]
	s_and_b64 s[8:9], s[8:9], s[10:11]
	;; [unrolled: 1-line block ×3, first 2 shown]
	s_and_saveexec_b64 s[18:19], s[8:9]
	s_cbranch_execz .LBB0_96
; %bb.93:                               ;   in Loop: Header=BB0_5 Depth=1
	v_cmp_nge_f64_e32 vcc, v[37:38], v[35:36]
	v_cmp_nge_f64_e64 s[8:9], v[27:28], v[35:36]
	v_cmp_nge_f64_e64 s[10:11], v[25:26], v[35:36]
	v_mov_b32_e32 v9, 4
	s_or_b64 s[8:9], vcc, s[8:9]
	s_or_b64 s[8:9], s[8:9], s[10:11]
	s_and_saveexec_b64 s[20:21], s[8:9]
	s_cbranch_execz .LBB0_95
; %bb.94:                               ;   in Loop: Header=BB0_5 Depth=1
	v_cmp_le_f64_e32 vcc, 0, v[37:38]
	v_cmp_le_f64_e64 s[8:9], 0, v[27:28]
	v_cmp_le_f64_e64 s[10:11], 0, v[25:26]
	v_cmp_lt_f64_e64 s[12:13], v[37:38], v[35:36]
	v_cmp_lt_f64_e64 s[14:15], v[27:28], v[35:36]
	;; [unrolled: 1-line block ×3, first 2 shown]
	s_and_b64 s[8:9], vcc, s[8:9]
	s_and_b64 s[8:9], s[8:9], s[10:11]
	s_and_b64 s[8:9], s[12:13], s[8:9]
	;; [unrolled: 1-line block ×3, first 2 shown]
	s_and_b64 vcc, s[8:9], s[16:17]
	v_cndmask_b32_e32 v9, v39, v40, vcc
.LBB0_95:                               ;   in Loop: Header=BB0_5 Depth=1
	s_or_b64 exec, exec, s[20:21]
.LBB0_96:                               ;   in Loop: Header=BB0_5 Depth=1
	s_or_b64 exec, exec, s[18:19]
	buffer_load_dword v10, v9, s[0:3], 0 offen
	s_waitcnt vmcnt(0)
	v_lshl_or_b32 v10, 4, s7, v10
	buffer_store_dword v10, v9, s[0:3], 0 offen
.LBB0_97:                               ;   in Loop: Header=BB0_5 Depth=1
	s_or_b64 exec, exec, s[26:27]
	s_cmp_lt_i32 s22, 2
	s_cbranch_scc1 .LBB0_104
; %bb.98:                               ;   in Loop: Header=BB0_5 Depth=1
	s_cmp_gt_i32 s22, 2
	s_cbranch_scc0 .LBB0_106
; %bb.99:                               ;   in Loop: Header=BB0_5 Depth=1
	s_cmp_gt_i32 s22, 3
	s_cbranch_scc0 .LBB0_107
; %bb.100:                              ;   in Loop: Header=BB0_5 Depth=1
	s_cmp_eq_u32 s22, 4
	s_mov_b64 s[8:9], -1
	s_cbranch_scc0 .LBB0_102
; %bb.101:                              ;   in Loop: Header=BB0_5 Depth=1
	s_mov_b64 s[8:9], 0
.LBB0_102:                              ;   in Loop: Header=BB0_5 Depth=1
.LBB0_103:                              ;   in Loop: Header=BB0_5 Depth=1
	s_movk_i32 s17, 0xd0
	s_mov_b32 s14, 0
	s_mov_b32 s13, 1
	;; [unrolled: 1-line block ×7, first 2 shown]
	s_branch .LBB0_109
.LBB0_104:                              ;   in Loop: Header=BB0_5 Depth=1
	s_mov_b64 s[8:9], 0
                                        ; implicit-def: $sgpr6
                                        ; implicit-def: $sgpr15
                                        ; implicit-def: $sgpr12
                                        ; implicit-def: $sgpr16
                                        ; implicit-def: $sgpr13
                                        ; implicit-def: $sgpr18
                                        ; implicit-def: $sgpr14
                                        ; implicit-def: $sgpr17
	s_cbranch_execnz .LBB0_112
	s_branch .LBB0_116
.LBB0_105:                              ;   in Loop: Header=BB0_5 Depth=1
	s_mov_b32 s13, 5
	s_mov_b32 s12, 7
	;; [unrolled: 1-line block ×7, first 2 shown]
	s_and_b64 vcc, exec, s[8:9]
	s_cbranch_vccnz .LBB0_86
	s_branch .LBB0_87
.LBB0_106:                              ;   in Loop: Header=BB0_5 Depth=1
	s_mov_b64 s[8:9], 0
                                        ; implicit-def: $sgpr6
                                        ; implicit-def: $sgpr15
                                        ; implicit-def: $sgpr12
                                        ; implicit-def: $sgpr16
                                        ; implicit-def: $sgpr13
                                        ; implicit-def: $sgpr18
                                        ; implicit-def: $sgpr14
                                        ; implicit-def: $sgpr17
	s_cbranch_execnz .LBB0_110
	s_branch .LBB0_111
.LBB0_107:                              ;   in Loop: Header=BB0_5 Depth=1
	s_mov_b64 s[8:9], 0
	s_cbranch_execz .LBB0_103
; %bb.108:                              ;   in Loop: Header=BB0_5 Depth=1
	s_mov_b32 s14, 2
	s_mov_b32 s13, 3
	;; [unrolled: 1-line block ×8, first 2 shown]
.LBB0_109:                              ;   in Loop: Header=BB0_5 Depth=1
	s_branch .LBB0_111
.LBB0_110:                              ;   in Loop: Header=BB0_5 Depth=1
	s_movk_i32 s17, 0xd0
	s_mov_b32 s14, 0
	s_mov_b32 s13, 4
	;; [unrolled: 1-line block ×7, first 2 shown]
.LBB0_111:                              ;   in Loop: Header=BB0_5 Depth=1
	s_branch .LBB0_116
.LBB0_112:                              ;   in Loop: Header=BB0_5 Depth=1
	s_cmp_gt_i32 s22, 0
	s_mov_b64 s[10:11], -1
	s_cbranch_scc0 .LBB0_114
; %bb.113:                              ;   in Loop: Header=BB0_5 Depth=1
	s_mov_b64 s[10:11], 0
.LBB0_114:                              ;   in Loop: Header=BB0_5 Depth=1
	s_andn2_b64 vcc, exec, s[10:11]
	s_mov_b32 s14, 1
	s_cbranch_vccnz .LBB0_126
; %bb.115:                              ;   in Loop: Header=BB0_5 Depth=1
	s_cmp_lg_u32 s22, 0
	s_movk_i32 s17, 0xd0
	s_mov_b32 s13, 2
	s_mov_b32 s12, 6
	;; [unrolled: 1-line block ×3, first 2 shown]
	s_cselect_b64 s[8:9], -1, 0
	s_mov_b32 s15, s38
	s_mov_b32 s16, s36
	;; [unrolled: 1-line block ×4, first 2 shown]
.LBB0_116:                              ;   in Loop: Header=BB0_5 Depth=1
	s_and_b64 vcc, exec, s[8:9]
	s_cbranch_vccz .LBB0_118
.LBB0_117:                              ;   in Loop: Header=BB0_5 Depth=1
	s_mov_b32 s6, 5
	s_mov_b32 s12, 7
	;; [unrolled: 1-line block ×8, first 2 shown]
.LBB0_118:                              ;   in Loop: Header=BB0_5 Depth=1
	v_mov_b32_e32 v17, s17
	v_mov_b32_e32 v18, s18
	buffer_load_dword v9, v17, s[0:3], 0 offen
	buffer_load_dword v10, v17, s[0:3], 0 offen offset:4
	buffer_load_dword v15, v18, s[0:3], 0 offen
	buffer_load_dword v16, v18, s[0:3], 0 offen offset:4
	v_mov_b32_e32 v19, s16
	buffer_load_dword v17, v19, s[0:3], 0 offen
	buffer_load_dword v18, v19, s[0:3], 0 offen offset:4
	v_mov_b32_e32 v21, s15
	buffer_load_dword v19, v21, s[0:3], 0 offen
	buffer_load_dword v20, v21, s[0:3], 0 offen offset:4
	s_waitcnt vmcnt(4)
	v_add_f64 v[15:16], v[9:10], v[15:16]
	v_add_f64 v[9:10], v[9:10], -v[1:2]
	s_waitcnt vmcnt(2)
	v_add_f64 v[15:16], v[15:16], v[17:18]
	s_waitcnt vmcnt(0)
	v_add_f64 v[17:18], v[19:20], -v[1:2]
	v_mul_f64 v[9:10], v[33:34], v[9:10]
	v_add_f64 v[15:16], v[15:16], v[19:20]
	v_mul_f64 v[17:18], v[33:34], v[17:18]
	v_cmp_ngt_f64_e64 s[10:11], 0, v[9:10]
	v_fma_f64 v[15:16], v[15:16], s[24:25], -v[1:2]
	v_cmp_ngt_f64_e32 vcc, 0, v[17:18]
	v_mul_f64 v[15:16], v[33:34], v[15:16]
	v_cmp_ngt_f64_e64 s[8:9], 0, v[15:16]
	s_or_b64 s[8:9], vcc, s[8:9]
	s_or_b64 s[8:9], s[8:9], s[10:11]
	s_and_saveexec_b64 s[26:27], s[8:9]
	s_cbranch_execz .LBB0_4
; %bb.119:                              ;   in Loop: Header=BB0_5 Depth=1
	v_cmp_nle_f64_e32 vcc, 1.0, v[17:18]
	v_cmp_nle_f64_e64 s[8:9], 1.0, v[15:16]
	v_cmp_nle_f64_e64 s[10:11], 1.0, v[9:10]
	s_or_b64 s[8:9], vcc, s[8:9]
	s_or_b64 s[8:9], s[8:9], s[10:11]
	s_and_b64 exec, exec, s[8:9]
	s_cbranch_execz .LBB0_4
; %bb.120:                              ;   in Loop: Header=BB0_5 Depth=1
	s_lshl_b32 s8, s14, 3
	s_add_i32 s14, s8, 0xd0
	s_lshl_b32 s8, s13, 3
	v_mov_b32_e32 v23, s14
	s_add_i32 s13, s8, 0xd0
	v_mov_b32_e32 v24, s13
	buffer_load_dword v19, v23, s[0:3], 0 offen offset:64
	buffer_load_dword v20, v23, s[0:3], 0 offen offset:68
	;; [unrolled: 1-line block ×4, first 2 shown]
	s_lshl_b32 s8, s12, 3
	s_add_i32 s12, s8, 0xd0
	v_mov_b32_e32 v25, s12
	buffer_load_dword v23, v25, s[0:3], 0 offen offset:64
	buffer_load_dword v24, v25, s[0:3], 0 offen offset:68
	s_lshl_b32 s6, s6, 3
	s_addk_i32 s6, 0xd0
	v_mov_b32_e32 v27, s6
	buffer_load_dword v25, v27, s[0:3], 0 offen offset:64
	buffer_load_dword v26, v27, s[0:3], 0 offen offset:68
	s_waitcnt vmcnt(4)
	v_add_f64 v[21:22], v[19:20], v[21:22]
	v_add_f64 v[19:20], v[19:20], -v[5:6]
	s_waitcnt vmcnt(2)
	v_add_f64 v[21:22], v[21:22], v[23:24]
	s_waitcnt vmcnt(0)
	v_add_f64 v[23:24], v[25:26], -v[5:6]
	v_mul_f64 v[19:20], v[31:32], v[19:20]
	v_add_f64 v[21:22], v[21:22], v[25:26]
	v_mul_f64 v[23:24], v[31:32], v[23:24]
	v_cmp_ngt_f64_e64 s[10:11], 0, v[19:20]
	v_fma_f64 v[21:22], v[21:22], s[24:25], -v[5:6]
	v_cmp_ngt_f64_e32 vcc, 0, v[23:24]
	v_mul_f64 v[21:22], v[31:32], v[21:22]
	v_cmp_ngt_f64_e64 s[8:9], 0, v[21:22]
	s_or_b64 s[8:9], vcc, s[8:9]
	s_or_b64 s[8:9], s[8:9], s[10:11]
	s_and_b64 exec, exec, s[8:9]
	s_cbranch_execz .LBB0_4
; %bb.121:                              ;   in Loop: Header=BB0_5 Depth=1
	v_cmp_nle_f64_e32 vcc, 1.0, v[23:24]
	v_cmp_nle_f64_e64 s[8:9], 1.0, v[21:22]
	v_cmp_nle_f64_e64 s[10:11], 1.0, v[19:20]
	s_or_b64 s[8:9], vcc, s[8:9]
	s_or_b64 s[8:9], s[8:9], s[10:11]
	s_and_b64 exec, exec, s[8:9]
	s_cbranch_execz .LBB0_4
; %bb.122:                              ;   in Loop: Header=BB0_5 Depth=1
	v_mov_b32_e32 v37, s14
	v_mov_b32_e32 v38, s13
	buffer_load_dword v25, v37, s[0:3], 0 offen offset:128
	buffer_load_dword v26, v37, s[0:3], 0 offen offset:132
	;; [unrolled: 1-line block ×4, first 2 shown]
	v_mov_b32_e32 v41, s12
	buffer_load_dword v37, v41, s[0:3], 0 offen offset:128
	buffer_load_dword v38, v41, s[0:3], 0 offen offset:132
	v_mov_b32_e32 v43, s6
	buffer_load_dword v41, v43, s[0:3], 0 offen offset:128
	buffer_load_dword v42, v43, s[0:3], 0 offen offset:132
	s_waitcnt vmcnt(4)
	v_add_f64 v[27:28], v[25:26], v[27:28]
	v_add_f64 v[25:26], v[25:26], -v[7:8]
	s_waitcnt vmcnt(2)
	v_add_f64 v[27:28], v[27:28], v[37:38]
	s_waitcnt vmcnt(0)
	v_add_f64 v[37:38], v[41:42], -v[7:8]
	v_cmp_ngt_f64_e64 s[10:11], 0, v[25:26]
	v_add_f64 v[27:28], v[27:28], v[41:42]
	v_cmp_ngt_f64_e32 vcc, 0, v[37:38]
	v_fma_f64 v[27:28], v[27:28], s[24:25], -v[7:8]
	v_cmp_ngt_f64_e64 s[8:9], 0, v[27:28]
	s_or_b64 s[8:9], vcc, s[8:9]
	s_or_b64 s[8:9], s[8:9], s[10:11]
	s_and_b64 exec, exec, s[8:9]
	s_cbranch_execz .LBB0_4
; %bb.123:                              ;   in Loop: Header=BB0_5 Depth=1
	v_cmp_le_f64_e32 vcc, 0, v[17:18]
	v_cmp_le_f64_e64 s[8:9], 0, v[15:16]
	v_cmp_le_f64_e64 s[10:11], 0, v[9:10]
	v_cmp_gt_f64_e64 s[12:13], 1.0, v[17:18]
	v_cmp_gt_f64_e64 s[14:15], 1.0, v[15:16]
	;; [unrolled: 1-line block ×3, first 2 shown]
	v_cmp_le_f64_e64 s[18:19], 0, v[23:24]
	v_cmp_le_f64_e64 s[20:21], 0, v[21:22]
	v_mov_b32_e32 v9, 8
	s_and_b64 s[8:9], vcc, s[8:9]
	s_and_b64 s[8:9], s[8:9], s[10:11]
	v_cmp_le_f64_e32 vcc, 0, v[19:20]
	s_and_b64 s[28:29], s[12:13], s[8:9]
	v_cmp_gt_f64_e64 s[8:9], 1.0, v[23:24]
	v_cmp_gt_f64_e64 s[10:11], 1.0, v[21:22]
	;; [unrolled: 1-line block ×3, first 2 shown]
	s_and_b64 s[14:15], s[28:29], s[14:15]
	s_and_b64 s[14:15], s[14:15], s[16:17]
	;; [unrolled: 1-line block ×4, first 2 shown]
	s_and_b64 s[14:15], s[14:15], vcc
	s_and_b64 s[8:9], s[8:9], s[14:15]
	s_and_b64 s[8:9], s[8:9], s[10:11]
	;; [unrolled: 1-line block ×3, first 2 shown]
	s_and_saveexec_b64 s[18:19], s[8:9]
	s_cbranch_execz .LBB0_3
; %bb.124:                              ;   in Loop: Header=BB0_5 Depth=1
	v_cmp_nge_f64_e32 vcc, v[37:38], v[35:36]
	v_cmp_nge_f64_e64 s[8:9], v[27:28], v[35:36]
	v_cmp_nge_f64_e64 s[10:11], v[25:26], v[35:36]
	v_mov_b32_e32 v9, 4
	s_or_b64 s[8:9], vcc, s[8:9]
	s_or_b64 s[8:9], s[8:9], s[10:11]
	s_and_saveexec_b64 s[20:21], s[8:9]
	s_cbranch_execz .LBB0_2
; %bb.125:                              ;   in Loop: Header=BB0_5 Depth=1
	v_cmp_le_f64_e32 vcc, 0, v[37:38]
	v_cmp_le_f64_e64 s[8:9], 0, v[27:28]
	v_cmp_le_f64_e64 s[10:11], 0, v[25:26]
	v_cmp_lt_f64_e64 s[12:13], v[37:38], v[35:36]
	v_cmp_lt_f64_e64 s[14:15], v[27:28], v[35:36]
	;; [unrolled: 1-line block ×3, first 2 shown]
	s_and_b64 s[8:9], vcc, s[8:9]
	s_and_b64 s[8:9], s[8:9], s[10:11]
	s_and_b64 s[8:9], s[12:13], s[8:9]
	;; [unrolled: 1-line block ×3, first 2 shown]
	s_and_b64 vcc, s[8:9], s[16:17]
	v_cndmask_b32_e32 v9, v39, v40, vcc
	s_branch .LBB0_2
.LBB0_126:                              ;   in Loop: Header=BB0_5 Depth=1
	s_mov_b32 s13, 5
	s_mov_b32 s12, 7
	s_mov_b32 s6, 3
	s_mov_b32 s15, s34
	s_mov_b32 s16, s39
	s_mov_b32 s18, s33
	s_mov_b32 s17, s35
	s_and_b64 vcc, exec, s[8:9]
	s_cbranch_vccnz .LBB0_117
	s_branch .LBB0_118
.LBB0_127:
	buffer_load_dword v9, off, s[0:3], 0 offset:8
	v_mov_b32_e32 v10, 0x100
	v_mul_u32_u24_e32 v0, 0xf8, v0
	s_waitcnt vmcnt(0)
	v_and_b32_e32 v15, 1, v9
	v_cmp_eq_u32_e32 vcc, 1, v15
	v_cndmask_b32_e32 v19, 0, v10, vcc
	v_cmp_eq_u32_e32 vcc, 0, v15
	v_cndmask_b32_e64 v20, 0, 1, vcc
	v_cmp_eq_u32_e32 vcc, 3, v15
	v_cndmask_b32_e32 v21, 0, v10, vcc
	v_cmp_eq_u32_e32 vcc, 2, v15
	v_cndmask_b32_e64 v22, 0, 1, vcc
	v_cmp_eq_u32_e32 vcc, 5, v15
	v_cndmask_b32_e32 v23, 0, v10, vcc
	v_cmp_eq_u32_e32 vcc, 4, v15
	v_cndmask_b32_e64 v24, 0, 1, vcc
	v_cmp_eq_u32_e32 vcc, 7, v15
	v_cndmask_b32_e32 v25, 0, v10, vcc
	v_cmp_eq_u32_e32 vcc, 6, v15
	v_cndmask_b32_e64 v26, 0, 1, vcc
	v_cmp_eq_u32_e32 vcc, 9, v15
	v_cndmask_b32_e32 v27, 0, v10, vcc
	v_cmp_eq_u32_e32 vcc, 8, v15
	v_cndmask_b32_e64 v28, 0, 1, vcc
	v_cmp_eq_u32_e32 vcc, 11, v15
	v_cndmask_b32_e32 v37, 0, v10, vcc
	v_cmp_eq_u32_e32 vcc, 10, v15
	v_cndmask_b32_e64 v38, 0, 1, vcc
	v_cmp_eq_u32_e32 vcc, 13, v15
	v_cndmask_b32_e32 v39, 0, v10, vcc
	v_cmp_eq_u32_e32 vcc, 12, v15
	v_cndmask_b32_e64 v40, 0, 1, vcc
	v_cmp_eq_u32_e32 vcc, 15, v15
	v_cndmask_b32_e32 v41, 0, v10, vcc
	v_cmp_eq_u32_e32 vcc, 14, v15
	v_cndmask_b32_e64 v42, 0, 1, vcc
	v_cmp_eq_u32_e32 vcc, 17, v15
	v_cndmask_b32_e32 v43, 0, v10, vcc
	v_cmp_eq_u32_e32 vcc, 16, v15
	v_cndmask_b32_e64 v44, 0, 1, vcc
	v_cmp_eq_u32_e32 vcc, 19, v15
	v_cndmask_b32_e32 v45, 0, v10, vcc
	v_cmp_eq_u32_e32 vcc, 18, v15
	v_cndmask_b32_e64 v46, 0, 1, vcc
	v_cmp_eq_u32_e32 vcc, 21, v15
	v_cndmask_b32_e32 v47, 0, v10, vcc
	v_cmp_eq_u32_e32 vcc, 20, v15
	v_cndmask_b32_e64 v48, 0, 1, vcc
	v_cmp_eq_u32_e32 vcc, 23, v15
	v_cndmask_b32_e32 v10, 0, v10, vcc
	v_cmp_eq_u32_e32 vcc, 22, v15
	v_bfe_u32 v17, v9, 1, 1
	v_cndmask_b32_e64 v49, 0, 1, vcc
	v_and_b32_e32 v16, 2, v9
	v_add_u32_e32 v15, v17, v15
	v_or_b32_e32 v17, v20, v19
	v_or_b32_sdwa v19, v22, v21 dst_sel:WORD_1 dst_unused:UNUSED_PAD src0_sel:DWORD src1_sel:DWORD
	v_or_b32_e32 v20, v24, v23
	v_or_b32_sdwa v21, v26, v25 dst_sel:WORD_1 dst_unused:UNUSED_PAD src0_sel:DWORD src1_sel:DWORD
	;; [unrolled: 2-line block ×6, first 2 shown]
	v_or_b32_sdwa v17, v17, v19 dst_sel:DWORD dst_unused:UNUSED_PAD src0_sel:WORD_0 src1_sel:DWORD
	v_or_b32_sdwa v19, v20, v21 dst_sel:DWORD dst_unused:UNUSED_PAD src0_sel:WORD_0 src1_sel:DWORD
	;; [unrolled: 1-line block ×6, first 2 shown]
	v_cmp_ne_u32_e32 vcc, 0, v16
	v_cndmask_b32_e32 v10, 0, v10, vcc
	v_cndmask_b32_e32 v16, 0, v22, vcc
	;; [unrolled: 1-line block ×6, first 2 shown]
	v_cmp_ne_u32_e32 vcc, 0, v15
	v_cndmask_b32_e32 v22, 2, v17, vcc
	v_lshrrev_b32_e32 v23, 8, v17
	v_cmp_ne_u32_e32 vcc, 1, v15
	v_cndmask_b32_e32 v23, 2, v23, vcc
	v_lshrrev_b32_e32 v24, 24, v17
	v_lshlrev_b16_e32 v23, 8, v23
	v_cmp_ne_u32_e32 vcc, 3, v15
	v_or_b32_sdwa v22, v22, v23 dst_sel:DWORD dst_unused:UNUSED_PAD src0_sel:BYTE_0 src1_sel:DWORD
	v_cndmask_b32_e32 v23, 2, v24, vcc
	v_lshrrev_b32_e32 v24, 16, v17
	v_cmp_ne_u32_e32 vcc, 2, v15
	v_lshlrev_b16_e32 v23, 8, v23
	v_cndmask_b32_e32 v24, 2, v24, vcc
	v_or_b32_sdwa v23, v24, v23 dst_sel:WORD_1 dst_unused:UNUSED_PAD src0_sel:BYTE_0 src1_sel:DWORD
	v_cmp_ne_u32_e32 vcc, 4, v15
	v_or_b32_sdwa v22, v22, v23 dst_sel:DWORD dst_unused:UNUSED_PAD src0_sel:WORD_0 src1_sel:DWORD
	v_cndmask_b32_e32 v23, 2, v19, vcc
	v_lshrrev_b32_e32 v24, 8, v19
	v_cmp_ne_u32_e32 vcc, 5, v15
	v_cndmask_b32_e32 v24, 2, v24, vcc
	v_lshlrev_b16_e32 v24, 8, v24
	v_or_b32_sdwa v23, v23, v24 dst_sel:DWORD dst_unused:UNUSED_PAD src0_sel:BYTE_0 src1_sel:DWORD
	v_lshrrev_b32_e32 v24, 24, v19
	v_cmp_ne_u32_e32 vcc, 7, v15
	v_cndmask_b32_e32 v24, 2, v24, vcc
	v_lshrrev_b32_e32 v25, 16, v19
	v_cmp_ne_u32_e32 vcc, 6, v15
	v_lshlrev_b16_e32 v24, 8, v24
	v_cndmask_b32_e32 v25, 2, v25, vcc
	v_or_b32_sdwa v24, v25, v24 dst_sel:WORD_1 dst_unused:UNUSED_PAD src0_sel:BYTE_0 src1_sel:DWORD
	v_cmp_ne_u32_e32 vcc, 8, v15
	v_or_b32_sdwa v23, v23, v24 dst_sel:DWORD dst_unused:UNUSED_PAD src0_sel:WORD_0 src1_sel:DWORD
	v_cndmask_b32_e32 v24, 2, v20, vcc
	v_lshrrev_b32_e32 v25, 8, v20
	v_cmp_ne_u32_e32 vcc, 9, v15
	v_cndmask_b32_e32 v25, 2, v25, vcc
	v_lshlrev_b16_e32 v25, 8, v25
	v_or_b32_sdwa v24, v24, v25 dst_sel:DWORD dst_unused:UNUSED_PAD src0_sel:BYTE_0 src1_sel:DWORD
	v_lshrrev_b32_e32 v25, 24, v20
	v_cmp_ne_u32_e32 vcc, 11, v15
	;; [unrolled: 16-line block ×5, first 2 shown]
	v_and_b32_e32 v18, 4, v9
	v_cndmask_b32_e32 v28, 2, v28, vcc
	v_lshrrev_b32_e32 v37, 16, v10
	v_cmp_ne_u32_e32 vcc, 22, v15
	v_lshlrev_b16_e32 v28, 8, v28
	v_cndmask_b32_e32 v37, 2, v37, vcc
	v_cmp_eq_u32_e32 vcc, 0, v18
	v_or_b32_sdwa v28, v37, v28 dst_sel:WORD_1 dst_unused:UNUSED_PAD src0_sel:BYTE_0 src1_sel:DWORD
	v_cndmask_b32_e32 v18, v25, v21, vcc
	v_bfe_u32 v21, v9, 2, 1
	v_or_b32_sdwa v27, v27, v28 dst_sel:DWORD dst_unused:UNUSED_PAD src0_sel:WORD_0 src1_sel:DWORD
	v_add_u32_e32 v15, v15, v21
	v_cndmask_b32_e32 v10, v27, v10, vcc
	v_cndmask_b32_e32 v16, v26, v16, vcc
	;; [unrolled: 1-line block ×5, first 2 shown]
	v_cmp_ne_u32_e32 vcc, 0, v15
	v_cndmask_b32_e32 v22, 3, v17, vcc
	v_lshrrev_b32_e32 v23, 8, v17
	v_cmp_ne_u32_e32 vcc, 1, v15
	v_cndmask_b32_e32 v23, 3, v23, vcc
	v_lshlrev_b16_e32 v23, 8, v23
	v_or_b32_sdwa v22, v22, v23 dst_sel:DWORD dst_unused:UNUSED_PAD src0_sel:BYTE_0 src1_sel:DWORD
	v_lshrrev_b32_e32 v23, 24, v17
	v_cmp_ne_u32_e32 vcc, 3, v15
	v_cndmask_b32_e32 v23, 3, v23, vcc
	v_lshrrev_b32_e32 v24, 16, v17
	v_cmp_ne_u32_e32 vcc, 2, v15
	v_lshlrev_b16_e32 v23, 8, v23
	v_cndmask_b32_e32 v24, 3, v24, vcc
	v_or_b32_sdwa v23, v24, v23 dst_sel:WORD_1 dst_unused:UNUSED_PAD src0_sel:BYTE_0 src1_sel:DWORD
	v_cmp_ne_u32_e32 vcc, 4, v15
	v_or_b32_sdwa v22, v22, v23 dst_sel:DWORD dst_unused:UNUSED_PAD src0_sel:WORD_0 src1_sel:DWORD
	v_cndmask_b32_e32 v23, 3, v19, vcc
	v_lshrrev_b32_e32 v24, 8, v19
	v_cmp_ne_u32_e32 vcc, 5, v15
	v_cndmask_b32_e32 v24, 3, v24, vcc
	v_lshlrev_b16_e32 v24, 8, v24
	v_or_b32_sdwa v23, v23, v24 dst_sel:DWORD dst_unused:UNUSED_PAD src0_sel:BYTE_0 src1_sel:DWORD
	v_lshrrev_b32_e32 v24, 24, v19
	v_cmp_ne_u32_e32 vcc, 7, v15
	v_cndmask_b32_e32 v24, 3, v24, vcc
	v_lshrrev_b32_e32 v25, 16, v19
	v_cmp_ne_u32_e32 vcc, 6, v15
	v_lshlrev_b16_e32 v24, 8, v24
	v_cndmask_b32_e32 v25, 3, v25, vcc
	v_or_b32_sdwa v24, v25, v24 dst_sel:WORD_1 dst_unused:UNUSED_PAD src0_sel:BYTE_0 src1_sel:DWORD
	v_cmp_ne_u32_e32 vcc, 8, v15
	v_or_b32_sdwa v23, v23, v24 dst_sel:DWORD dst_unused:UNUSED_PAD src0_sel:WORD_0 src1_sel:DWORD
	;; [unrolled: 16-line block ×5, first 2 shown]
	v_cndmask_b32_e32 v27, 3, v10, vcc
	v_lshrrev_b32_e32 v28, 8, v10
	v_cmp_ne_u32_e32 vcc, 21, v15
	v_cndmask_b32_e32 v28, 3, v28, vcc
	v_lshlrev_b16_e32 v28, 8, v28
	v_or_b32_sdwa v27, v27, v28 dst_sel:DWORD dst_unused:UNUSED_PAD src0_sel:BYTE_0 src1_sel:DWORD
	v_lshrrev_b32_e32 v28, 24, v10
	v_cmp_ne_u32_e32 vcc, 23, v15
	v_cndmask_b32_e32 v28, 3, v28, vcc
	v_lshrrev_b32_e32 v37, 16, v10
	v_cmp_ne_u32_e32 vcc, 22, v15
	v_and_b32_e32 v21, 8, v9
	v_lshlrev_b16_e32 v28, 8, v28
	v_cndmask_b32_e32 v37, 3, v37, vcc
	v_or_b32_sdwa v28, v37, v28 dst_sel:WORD_1 dst_unused:UNUSED_PAD src0_sel:BYTE_0 src1_sel:DWORD
	v_cmp_eq_u32_e32 vcc, 0, v21
	v_bfe_u32 v21, v9, 3, 1
	v_or_b32_sdwa v27, v27, v28 dst_sel:DWORD dst_unused:UNUSED_PAD src0_sel:WORD_0 src1_sel:DWORD
	v_add_u32_e32 v15, v15, v21
	v_cndmask_b32_e32 v10, v27, v10, vcc
	v_cndmask_b32_e32 v16, v26, v16, vcc
	v_cndmask_b32_e32 v18, v25, v18, vcc
	v_cndmask_b32_e32 v20, v24, v20, vcc
	v_cndmask_b32_e32 v19, v23, v19, vcc
	v_cndmask_b32_e32 v17, v22, v17, vcc
	v_cmp_ne_u32_e32 vcc, 0, v15
	v_cndmask_b32_e32 v22, 4, v17, vcc
	v_lshrrev_b32_e32 v23, 8, v17
	v_cmp_ne_u32_e32 vcc, 1, v15
	v_cndmask_b32_e32 v23, 4, v23, vcc
	v_lshlrev_b16_e32 v23, 8, v23
	v_or_b32_sdwa v22, v22, v23 dst_sel:DWORD dst_unused:UNUSED_PAD src0_sel:BYTE_0 src1_sel:DWORD
	v_lshrrev_b32_e32 v23, 24, v17
	v_cmp_ne_u32_e32 vcc, 3, v15
	v_cndmask_b32_e32 v23, 4, v23, vcc
	v_lshrrev_b32_e32 v24, 16, v17
	v_cmp_ne_u32_e32 vcc, 2, v15
	v_lshlrev_b16_e32 v23, 8, v23
	v_cndmask_b32_e32 v24, 4, v24, vcc
	v_or_b32_sdwa v23, v24, v23 dst_sel:WORD_1 dst_unused:UNUSED_PAD src0_sel:BYTE_0 src1_sel:DWORD
	v_cmp_ne_u32_e32 vcc, 4, v15
	v_or_b32_sdwa v22, v22, v23 dst_sel:DWORD dst_unused:UNUSED_PAD src0_sel:WORD_0 src1_sel:DWORD
	v_cndmask_b32_e32 v23, 4, v19, vcc
	v_lshrrev_b32_e32 v24, 8, v19
	v_cmp_ne_u32_e32 vcc, 5, v15
	v_cndmask_b32_e32 v24, 4, v24, vcc
	v_lshlrev_b16_e32 v24, 8, v24
	v_or_b32_sdwa v23, v23, v24 dst_sel:DWORD dst_unused:UNUSED_PAD src0_sel:BYTE_0 src1_sel:DWORD
	v_lshrrev_b32_e32 v24, 24, v19
	v_cmp_ne_u32_e32 vcc, 7, v15
	v_cndmask_b32_e32 v24, 4, v24, vcc
	v_lshrrev_b32_e32 v25, 16, v19
	v_cmp_ne_u32_e32 vcc, 6, v15
	v_lshlrev_b16_e32 v24, 8, v24
	v_cndmask_b32_e32 v25, 4, v25, vcc
	v_or_b32_sdwa v24, v25, v24 dst_sel:WORD_1 dst_unused:UNUSED_PAD src0_sel:BYTE_0 src1_sel:DWORD
	v_cmp_ne_u32_e32 vcc, 8, v15
	v_or_b32_sdwa v23, v23, v24 dst_sel:DWORD dst_unused:UNUSED_PAD src0_sel:WORD_0 src1_sel:DWORD
	;; [unrolled: 16-line block ×5, first 2 shown]
	v_cndmask_b32_e32 v27, 4, v10, vcc
	v_lshrrev_b32_e32 v28, 8, v10
	v_cmp_ne_u32_e32 vcc, 21, v15
	v_cndmask_b32_e32 v28, 4, v28, vcc
	v_lshlrev_b16_e32 v28, 8, v28
	v_or_b32_sdwa v27, v27, v28 dst_sel:DWORD dst_unused:UNUSED_PAD src0_sel:BYTE_0 src1_sel:DWORD
	v_lshrrev_b32_e32 v28, 24, v10
	v_cmp_ne_u32_e32 vcc, 23, v15
	v_cndmask_b32_e32 v28, 4, v28, vcc
	v_lshrrev_b32_e32 v37, 16, v10
	v_cmp_ne_u32_e32 vcc, 22, v15
	v_and_b32_e32 v21, 16, v9
	v_lshlrev_b16_e32 v28, 8, v28
	v_cndmask_b32_e32 v37, 4, v37, vcc
	v_or_b32_sdwa v28, v37, v28 dst_sel:WORD_1 dst_unused:UNUSED_PAD src0_sel:BYTE_0 src1_sel:DWORD
	v_cmp_eq_u32_e32 vcc, 0, v21
	v_bfe_u32 v21, v9, 4, 1
	v_or_b32_sdwa v27, v27, v28 dst_sel:DWORD dst_unused:UNUSED_PAD src0_sel:WORD_0 src1_sel:DWORD
	v_add_u32_e32 v15, v15, v21
	v_cndmask_b32_e32 v10, v27, v10, vcc
	v_cndmask_b32_e32 v16, v26, v16, vcc
	;; [unrolled: 1-line block ×6, first 2 shown]
	v_cmp_ne_u32_e32 vcc, 0, v15
	v_cndmask_b32_e32 v22, 5, v17, vcc
	v_lshrrev_b32_e32 v23, 8, v17
	v_cmp_ne_u32_e32 vcc, 1, v15
	v_cndmask_b32_e32 v23, 5, v23, vcc
	v_lshlrev_b16_e32 v23, 8, v23
	v_or_b32_sdwa v22, v22, v23 dst_sel:DWORD dst_unused:UNUSED_PAD src0_sel:BYTE_0 src1_sel:DWORD
	v_lshrrev_b32_e32 v23, 24, v17
	v_cmp_ne_u32_e32 vcc, 3, v15
	v_cndmask_b32_e32 v23, 5, v23, vcc
	v_lshrrev_b32_e32 v24, 16, v17
	v_cmp_ne_u32_e32 vcc, 2, v15
	v_lshlrev_b16_e32 v23, 8, v23
	v_cndmask_b32_e32 v24, 5, v24, vcc
	v_or_b32_sdwa v23, v24, v23 dst_sel:WORD_1 dst_unused:UNUSED_PAD src0_sel:BYTE_0 src1_sel:DWORD
	v_cmp_ne_u32_e32 vcc, 4, v15
	v_or_b32_sdwa v22, v22, v23 dst_sel:DWORD dst_unused:UNUSED_PAD src0_sel:WORD_0 src1_sel:DWORD
	v_cndmask_b32_e32 v23, 5, v19, vcc
	v_lshrrev_b32_e32 v24, 8, v19
	v_cmp_ne_u32_e32 vcc, 5, v15
	v_cndmask_b32_e32 v24, 5, v24, vcc
	v_lshlrev_b16_e32 v24, 8, v24
	v_or_b32_sdwa v23, v23, v24 dst_sel:DWORD dst_unused:UNUSED_PAD src0_sel:BYTE_0 src1_sel:DWORD
	v_lshrrev_b32_e32 v24, 24, v19
	v_cmp_ne_u32_e32 vcc, 7, v15
	v_cndmask_b32_e32 v24, 5, v24, vcc
	v_lshrrev_b32_e32 v25, 16, v19
	v_cmp_ne_u32_e32 vcc, 6, v15
	v_lshlrev_b16_e32 v24, 8, v24
	v_cndmask_b32_e32 v25, 5, v25, vcc
	v_or_b32_sdwa v24, v25, v24 dst_sel:WORD_1 dst_unused:UNUSED_PAD src0_sel:BYTE_0 src1_sel:DWORD
	v_cmp_ne_u32_e32 vcc, 8, v15
	v_or_b32_sdwa v23, v23, v24 dst_sel:DWORD dst_unused:UNUSED_PAD src0_sel:WORD_0 src1_sel:DWORD
	v_cndmask_b32_e32 v24, 5, v20, vcc
	v_lshrrev_b32_e32 v25, 8, v20
	v_cmp_ne_u32_e32 vcc, 9, v15
	v_cndmask_b32_e32 v25, 5, v25, vcc
	v_lshlrev_b16_e32 v25, 8, v25
	v_or_b32_sdwa v24, v24, v25 dst_sel:DWORD dst_unused:UNUSED_PAD src0_sel:BYTE_0 src1_sel:DWORD
	v_lshrrev_b32_e32 v25, 24, v20
	v_cmp_ne_u32_e32 vcc, 11, v15
	v_cndmask_b32_e32 v25, 5, v25, vcc
	v_lshrrev_b32_e32 v26, 16, v20
	v_cmp_ne_u32_e32 vcc, 10, v15
	v_lshlrev_b16_e32 v25, 8, v25
	v_cndmask_b32_e32 v26, 5, v26, vcc
	v_or_b32_sdwa v25, v26, v25 dst_sel:WORD_1 dst_unused:UNUSED_PAD src0_sel:BYTE_0 src1_sel:DWORD
	v_cmp_ne_u32_e32 vcc, 12, v15
	v_or_b32_sdwa v24, v24, v25 dst_sel:DWORD dst_unused:UNUSED_PAD src0_sel:WORD_0 src1_sel:DWORD
	v_cndmask_b32_e32 v25, 5, v18, vcc
	v_lshrrev_b32_e32 v26, 8, v18
	v_cmp_ne_u32_e32 vcc, 13, v15
	v_cndmask_b32_e32 v26, 5, v26, vcc
	v_lshlrev_b16_e32 v26, 8, v26
	v_or_b32_sdwa v25, v25, v26 dst_sel:DWORD dst_unused:UNUSED_PAD src0_sel:BYTE_0 src1_sel:DWORD
	v_lshrrev_b32_e32 v26, 24, v18
	v_cmp_ne_u32_e32 vcc, 15, v15
	v_cndmask_b32_e32 v26, 5, v26, vcc
	v_lshrrev_b32_e32 v27, 16, v18
	v_cmp_ne_u32_e32 vcc, 14, v15
	v_lshlrev_b16_e32 v26, 8, v26
	v_cndmask_b32_e32 v27, 5, v27, vcc
	v_or_b32_sdwa v26, v27, v26 dst_sel:WORD_1 dst_unused:UNUSED_PAD src0_sel:BYTE_0 src1_sel:DWORD
	v_cmp_ne_u32_e32 vcc, 16, v15
	v_or_b32_sdwa v25, v25, v26 dst_sel:DWORD dst_unused:UNUSED_PAD src0_sel:WORD_0 src1_sel:DWORD
	v_cndmask_b32_e32 v26, 5, v16, vcc
	v_lshrrev_b32_e32 v27, 8, v16
	v_cmp_ne_u32_e32 vcc, 17, v15
	v_cndmask_b32_e32 v27, 5, v27, vcc
	v_lshlrev_b16_e32 v27, 8, v27
	v_or_b32_sdwa v26, v26, v27 dst_sel:DWORD dst_unused:UNUSED_PAD src0_sel:BYTE_0 src1_sel:DWORD
	v_lshrrev_b32_e32 v27, 24, v16
	v_cmp_ne_u32_e32 vcc, 19, v15
	v_cndmask_b32_e32 v27, 5, v27, vcc
	v_lshrrev_b32_e32 v28, 16, v16
	v_cmp_ne_u32_e32 vcc, 18, v15
	v_lshlrev_b16_e32 v27, 8, v27
	v_cndmask_b32_e32 v28, 5, v28, vcc
	v_or_b32_sdwa v27, v28, v27 dst_sel:WORD_1 dst_unused:UNUSED_PAD src0_sel:BYTE_0 src1_sel:DWORD
	v_cmp_ne_u32_e32 vcc, 20, v15
	v_or_b32_sdwa v26, v26, v27 dst_sel:DWORD dst_unused:UNUSED_PAD src0_sel:WORD_0 src1_sel:DWORD
	v_cndmask_b32_e32 v27, 5, v10, vcc
	v_lshrrev_b32_e32 v28, 8, v10
	v_cmp_ne_u32_e32 vcc, 21, v15
	v_cndmask_b32_e32 v28, 5, v28, vcc
	v_lshlrev_b16_e32 v28, 8, v28
	v_or_b32_sdwa v27, v27, v28 dst_sel:DWORD dst_unused:UNUSED_PAD src0_sel:BYTE_0 src1_sel:DWORD
	v_lshrrev_b32_e32 v28, 24, v10
	v_cmp_ne_u32_e32 vcc, 23, v15
	v_cndmask_b32_e32 v28, 5, v28, vcc
	v_lshrrev_b32_e32 v37, 16, v10
	v_cmp_ne_u32_e32 vcc, 22, v15
	v_and_b32_e32 v21, 32, v9
	v_lshlrev_b16_e32 v28, 8, v28
	v_cndmask_b32_e32 v37, 5, v37, vcc
	v_or_b32_sdwa v28, v37, v28 dst_sel:WORD_1 dst_unused:UNUSED_PAD src0_sel:BYTE_0 src1_sel:DWORD
	v_cmp_eq_u32_e32 vcc, 0, v21
	v_bfe_u32 v21, v9, 5, 1
	v_or_b32_sdwa v27, v27, v28 dst_sel:DWORD dst_unused:UNUSED_PAD src0_sel:WORD_0 src1_sel:DWORD
	v_add_u32_e32 v15, v15, v21
	v_cndmask_b32_e32 v10, v27, v10, vcc
	v_cndmask_b32_e32 v16, v26, v16, vcc
	v_cndmask_b32_e32 v18, v25, v18, vcc
	v_cndmask_b32_e32 v20, v24, v20, vcc
	v_cndmask_b32_e32 v19, v23, v19, vcc
	v_cndmask_b32_e32 v17, v22, v17, vcc
	v_cmp_ne_u32_e32 vcc, 0, v15
	v_cndmask_b32_e32 v22, 6, v17, vcc
	v_lshrrev_b32_e32 v23, 8, v17
	v_cmp_ne_u32_e32 vcc, 1, v15
	v_cndmask_b32_e32 v23, 6, v23, vcc
	v_lshlrev_b16_e32 v23, 8, v23
	v_or_b32_sdwa v22, v22, v23 dst_sel:DWORD dst_unused:UNUSED_PAD src0_sel:BYTE_0 src1_sel:DWORD
	v_lshrrev_b32_e32 v23, 24, v17
	v_cmp_ne_u32_e32 vcc, 3, v15
	v_cndmask_b32_e32 v23, 6, v23, vcc
	v_lshrrev_b32_e32 v24, 16, v17
	v_cmp_ne_u32_e32 vcc, 2, v15
	v_lshlrev_b16_e32 v23, 8, v23
	v_cndmask_b32_e32 v24, 6, v24, vcc
	v_or_b32_sdwa v23, v24, v23 dst_sel:WORD_1 dst_unused:UNUSED_PAD src0_sel:BYTE_0 src1_sel:DWORD
	v_cmp_ne_u32_e32 vcc, 4, v15
	v_or_b32_sdwa v22, v22, v23 dst_sel:DWORD dst_unused:UNUSED_PAD src0_sel:WORD_0 src1_sel:DWORD
	v_cndmask_b32_e32 v23, 6, v19, vcc
	v_lshrrev_b32_e32 v24, 8, v19
	v_cmp_ne_u32_e32 vcc, 5, v15
	v_cndmask_b32_e32 v24, 6, v24, vcc
	v_lshlrev_b16_e32 v24, 8, v24
	v_or_b32_sdwa v23, v23, v24 dst_sel:DWORD dst_unused:UNUSED_PAD src0_sel:BYTE_0 src1_sel:DWORD
	v_lshrrev_b32_e32 v24, 24, v19
	v_cmp_ne_u32_e32 vcc, 7, v15
	v_cndmask_b32_e32 v24, 6, v24, vcc
	v_lshrrev_b32_e32 v25, 16, v19
	v_cmp_ne_u32_e32 vcc, 6, v15
	v_lshlrev_b16_e32 v24, 8, v24
	v_cndmask_b32_e32 v25, 6, v25, vcc
	v_or_b32_sdwa v24, v25, v24 dst_sel:WORD_1 dst_unused:UNUSED_PAD src0_sel:BYTE_0 src1_sel:DWORD
	v_cmp_ne_u32_e32 vcc, 8, v15
	v_or_b32_sdwa v23, v23, v24 dst_sel:DWORD dst_unused:UNUSED_PAD src0_sel:WORD_0 src1_sel:DWORD
	;; [unrolled: 16-line block ×5, first 2 shown]
	v_cndmask_b32_e32 v27, 6, v10, vcc
	v_lshrrev_b32_e32 v28, 8, v10
	v_cmp_ne_u32_e32 vcc, 21, v15
	v_cndmask_b32_e32 v28, 6, v28, vcc
	v_lshlrev_b16_e32 v28, 8, v28
	v_or_b32_sdwa v27, v27, v28 dst_sel:DWORD dst_unused:UNUSED_PAD src0_sel:BYTE_0 src1_sel:DWORD
	v_lshrrev_b32_e32 v28, 24, v10
	v_cmp_ne_u32_e32 vcc, 23, v15
	v_cndmask_b32_e32 v28, 6, v28, vcc
	v_lshrrev_b32_e32 v37, 16, v10
	v_cmp_ne_u32_e32 vcc, 22, v15
	v_and_b32_e32 v21, 64, v9
	v_lshlrev_b16_e32 v28, 8, v28
	v_cndmask_b32_e32 v37, 6, v37, vcc
	v_or_b32_sdwa v28, v37, v28 dst_sel:WORD_1 dst_unused:UNUSED_PAD src0_sel:BYTE_0 src1_sel:DWORD
	v_cmp_eq_u32_e32 vcc, 0, v21
	v_bfe_u32 v21, v9, 6, 1
	v_or_b32_sdwa v27, v27, v28 dst_sel:DWORD dst_unused:UNUSED_PAD src0_sel:WORD_0 src1_sel:DWORD
	v_add_u32_e32 v15, v15, v21
	v_cndmask_b32_e32 v10, v27, v10, vcc
	v_cndmask_b32_e32 v16, v26, v16, vcc
	;; [unrolled: 1-line block ×6, first 2 shown]
	v_cmp_ne_u32_e32 vcc, 0, v15
	v_cndmask_b32_e32 v22, 7, v17, vcc
	v_lshrrev_b32_e32 v23, 8, v17
	v_cmp_ne_u32_e32 vcc, 1, v15
	v_cndmask_b32_e32 v23, 7, v23, vcc
	v_lshlrev_b16_e32 v23, 8, v23
	v_or_b32_sdwa v22, v22, v23 dst_sel:DWORD dst_unused:UNUSED_PAD src0_sel:BYTE_0 src1_sel:DWORD
	v_lshrrev_b32_e32 v23, 24, v17
	v_cmp_ne_u32_e32 vcc, 3, v15
	v_cndmask_b32_e32 v23, 7, v23, vcc
	v_lshrrev_b32_e32 v24, 16, v17
	v_cmp_ne_u32_e32 vcc, 2, v15
	v_lshlrev_b16_e32 v23, 8, v23
	v_cndmask_b32_e32 v24, 7, v24, vcc
	v_or_b32_sdwa v23, v24, v23 dst_sel:WORD_1 dst_unused:UNUSED_PAD src0_sel:BYTE_0 src1_sel:DWORD
	v_cmp_ne_u32_e32 vcc, 4, v15
	v_or_b32_sdwa v22, v22, v23 dst_sel:DWORD dst_unused:UNUSED_PAD src0_sel:WORD_0 src1_sel:DWORD
	v_cndmask_b32_e32 v23, 7, v19, vcc
	v_lshrrev_b32_e32 v24, 8, v19
	v_cmp_ne_u32_e32 vcc, 5, v15
	v_cndmask_b32_e32 v24, 7, v24, vcc
	v_lshlrev_b16_e32 v24, 8, v24
	v_or_b32_sdwa v23, v23, v24 dst_sel:DWORD dst_unused:UNUSED_PAD src0_sel:BYTE_0 src1_sel:DWORD
	v_lshrrev_b32_e32 v24, 24, v19
	v_cmp_ne_u32_e32 vcc, 7, v15
	v_cndmask_b32_e32 v24, 7, v24, vcc
	v_lshrrev_b32_e32 v25, 16, v19
	v_cmp_ne_u32_e32 vcc, 6, v15
	v_lshlrev_b16_e32 v24, 8, v24
	v_cndmask_b32_e32 v25, 7, v25, vcc
	v_or_b32_sdwa v24, v25, v24 dst_sel:WORD_1 dst_unused:UNUSED_PAD src0_sel:BYTE_0 src1_sel:DWORD
	v_cmp_ne_u32_e32 vcc, 8, v15
	v_or_b32_sdwa v23, v23, v24 dst_sel:DWORD dst_unused:UNUSED_PAD src0_sel:WORD_0 src1_sel:DWORD
	;; [unrolled: 16-line block ×5, first 2 shown]
	v_cndmask_b32_e32 v27, 7, v10, vcc
	v_lshrrev_b32_e32 v28, 8, v10
	v_cmp_ne_u32_e32 vcc, 21, v15
	v_cndmask_b32_e32 v28, 7, v28, vcc
	v_lshlrev_b16_e32 v28, 8, v28
	v_or_b32_sdwa v27, v27, v28 dst_sel:DWORD dst_unused:UNUSED_PAD src0_sel:BYTE_0 src1_sel:DWORD
	v_lshrrev_b32_e32 v28, 24, v10
	v_cmp_ne_u32_e32 vcc, 23, v15
	v_cndmask_b32_e32 v28, 7, v28, vcc
	v_lshrrev_b32_e32 v37, 16, v10
	v_cmp_ne_u32_e32 vcc, 22, v15
	v_and_b32_e32 v21, 0x80, v9
	v_lshlrev_b16_e32 v28, 8, v28
	v_cndmask_b32_e32 v37, 7, v37, vcc
	v_or_b32_sdwa v28, v37, v28 dst_sel:WORD_1 dst_unused:UNUSED_PAD src0_sel:BYTE_0 src1_sel:DWORD
	v_cmp_eq_u32_e32 vcc, 0, v21
	v_bfe_u32 v21, v9, 7, 1
	v_or_b32_sdwa v27, v27, v28 dst_sel:DWORD dst_unused:UNUSED_PAD src0_sel:WORD_0 src1_sel:DWORD
	v_add_u32_e32 v15, v15, v21
	v_cndmask_b32_e32 v10, v27, v10, vcc
	v_cndmask_b32_e32 v16, v26, v16, vcc
	;; [unrolled: 1-line block ×6, first 2 shown]
	v_cmp_ne_u32_e32 vcc, 0, v15
	v_cndmask_b32_e32 v22, 8, v17, vcc
	v_lshrrev_b32_e32 v23, 8, v17
	v_cmp_ne_u32_e32 vcc, 1, v15
	v_cndmask_b32_e32 v23, 8, v23, vcc
	v_lshlrev_b16_e32 v23, 8, v23
	v_or_b32_sdwa v22, v22, v23 dst_sel:DWORD dst_unused:UNUSED_PAD src0_sel:BYTE_0 src1_sel:DWORD
	v_lshrrev_b32_e32 v23, 24, v17
	v_cmp_ne_u32_e32 vcc, 3, v15
	v_cndmask_b32_e32 v23, 8, v23, vcc
	v_lshrrev_b32_e32 v24, 16, v17
	v_cmp_ne_u32_e32 vcc, 2, v15
	v_lshlrev_b16_e32 v23, 8, v23
	v_cndmask_b32_e32 v24, 8, v24, vcc
	v_or_b32_sdwa v23, v24, v23 dst_sel:WORD_1 dst_unused:UNUSED_PAD src0_sel:BYTE_0 src1_sel:DWORD
	v_cmp_ne_u32_e32 vcc, 4, v15
	v_or_b32_sdwa v22, v22, v23 dst_sel:DWORD dst_unused:UNUSED_PAD src0_sel:WORD_0 src1_sel:DWORD
	v_cndmask_b32_e32 v23, 8, v19, vcc
	v_lshrrev_b32_e32 v24, 8, v19
	v_cmp_ne_u32_e32 vcc, 5, v15
	v_cndmask_b32_e32 v24, 8, v24, vcc
	v_lshlrev_b16_e32 v24, 8, v24
	v_or_b32_sdwa v23, v23, v24 dst_sel:DWORD dst_unused:UNUSED_PAD src0_sel:BYTE_0 src1_sel:DWORD
	v_lshrrev_b32_e32 v24, 24, v19
	v_cmp_ne_u32_e32 vcc, 7, v15
	v_cndmask_b32_e32 v24, 8, v24, vcc
	v_lshrrev_b32_e32 v25, 16, v19
	v_cmp_ne_u32_e32 vcc, 6, v15
	v_lshlrev_b16_e32 v24, 8, v24
	v_cndmask_b32_e32 v25, 8, v25, vcc
	v_or_b32_sdwa v24, v25, v24 dst_sel:WORD_1 dst_unused:UNUSED_PAD src0_sel:BYTE_0 src1_sel:DWORD
	v_cmp_ne_u32_e32 vcc, 8, v15
	v_or_b32_sdwa v23, v23, v24 dst_sel:DWORD dst_unused:UNUSED_PAD src0_sel:WORD_0 src1_sel:DWORD
	;; [unrolled: 16-line block ×5, first 2 shown]
	v_cndmask_b32_e32 v27, 8, v10, vcc
	v_lshrrev_b32_e32 v28, 8, v10
	v_cmp_ne_u32_e32 vcc, 21, v15
	v_cndmask_b32_e32 v28, 8, v28, vcc
	v_lshlrev_b16_e32 v28, 8, v28
	v_or_b32_sdwa v27, v27, v28 dst_sel:DWORD dst_unused:UNUSED_PAD src0_sel:BYTE_0 src1_sel:DWORD
	v_lshrrev_b32_e32 v28, 24, v10
	v_cmp_ne_u32_e32 vcc, 23, v15
	v_cndmask_b32_e32 v28, 8, v28, vcc
	v_lshrrev_b32_e32 v37, 16, v10
	v_cmp_ne_u32_e32 vcc, 22, v15
	v_and_b32_e32 v21, 0x100, v9
	v_lshlrev_b16_e32 v28, 8, v28
	v_cndmask_b32_e32 v37, 8, v37, vcc
	v_or_b32_sdwa v28, v37, v28 dst_sel:WORD_1 dst_unused:UNUSED_PAD src0_sel:BYTE_0 src1_sel:DWORD
	v_cmp_eq_u32_e32 vcc, 0, v21
	v_bfe_u32 v21, v9, 8, 1
	v_or_b32_sdwa v27, v27, v28 dst_sel:DWORD dst_unused:UNUSED_PAD src0_sel:WORD_0 src1_sel:DWORD
	v_add_u32_e32 v15, v15, v21
	v_cndmask_b32_e32 v10, v27, v10, vcc
	v_cndmask_b32_e32 v16, v26, v16, vcc
	;; [unrolled: 1-line block ×6, first 2 shown]
	v_cmp_ne_u32_e32 vcc, 0, v15
	v_cndmask_b32_e32 v22, 9, v17, vcc
	v_lshrrev_b32_e32 v23, 8, v17
	v_cmp_ne_u32_e32 vcc, 1, v15
	v_cndmask_b32_e32 v23, 9, v23, vcc
	v_lshlrev_b16_e32 v23, 8, v23
	v_or_b32_sdwa v22, v22, v23 dst_sel:DWORD dst_unused:UNUSED_PAD src0_sel:BYTE_0 src1_sel:DWORD
	v_lshrrev_b32_e32 v23, 24, v17
	v_cmp_ne_u32_e32 vcc, 3, v15
	v_cndmask_b32_e32 v23, 9, v23, vcc
	v_lshrrev_b32_e32 v24, 16, v17
	v_cmp_ne_u32_e32 vcc, 2, v15
	v_lshlrev_b16_e32 v23, 8, v23
	v_cndmask_b32_e32 v24, 9, v24, vcc
	v_or_b32_sdwa v23, v24, v23 dst_sel:WORD_1 dst_unused:UNUSED_PAD src0_sel:BYTE_0 src1_sel:DWORD
	v_cmp_ne_u32_e32 vcc, 4, v15
	v_or_b32_sdwa v22, v22, v23 dst_sel:DWORD dst_unused:UNUSED_PAD src0_sel:WORD_0 src1_sel:DWORD
	v_cndmask_b32_e32 v23, 9, v19, vcc
	v_lshrrev_b32_e32 v24, 8, v19
	v_cmp_ne_u32_e32 vcc, 5, v15
	v_cndmask_b32_e32 v24, 9, v24, vcc
	v_lshlrev_b16_e32 v24, 8, v24
	v_or_b32_sdwa v23, v23, v24 dst_sel:DWORD dst_unused:UNUSED_PAD src0_sel:BYTE_0 src1_sel:DWORD
	v_lshrrev_b32_e32 v24, 24, v19
	v_cmp_ne_u32_e32 vcc, 7, v15
	v_cndmask_b32_e32 v24, 9, v24, vcc
	v_lshrrev_b32_e32 v25, 16, v19
	v_cmp_ne_u32_e32 vcc, 6, v15
	v_lshlrev_b16_e32 v24, 8, v24
	v_cndmask_b32_e32 v25, 9, v25, vcc
	v_or_b32_sdwa v24, v25, v24 dst_sel:WORD_1 dst_unused:UNUSED_PAD src0_sel:BYTE_0 src1_sel:DWORD
	v_cmp_ne_u32_e32 vcc, 8, v15
	v_or_b32_sdwa v23, v23, v24 dst_sel:DWORD dst_unused:UNUSED_PAD src0_sel:WORD_0 src1_sel:DWORD
	;; [unrolled: 16-line block ×5, first 2 shown]
	v_cndmask_b32_e32 v27, 9, v10, vcc
	v_lshrrev_b32_e32 v28, 8, v10
	v_cmp_ne_u32_e32 vcc, 21, v15
	v_cndmask_b32_e32 v28, 9, v28, vcc
	v_lshlrev_b16_e32 v28, 8, v28
	v_or_b32_sdwa v27, v27, v28 dst_sel:DWORD dst_unused:UNUSED_PAD src0_sel:BYTE_0 src1_sel:DWORD
	v_lshrrev_b32_e32 v28, 24, v10
	v_cmp_ne_u32_e32 vcc, 23, v15
	v_cndmask_b32_e32 v28, 9, v28, vcc
	v_lshrrev_b32_e32 v37, 16, v10
	v_cmp_ne_u32_e32 vcc, 22, v15
	v_and_b32_e32 v21, 0x200, v9
	v_lshlrev_b16_e32 v28, 8, v28
	v_cndmask_b32_e32 v37, 9, v37, vcc
	v_or_b32_sdwa v28, v37, v28 dst_sel:WORD_1 dst_unused:UNUSED_PAD src0_sel:BYTE_0 src1_sel:DWORD
	v_cmp_eq_u32_e32 vcc, 0, v21
	v_bfe_u32 v21, v9, 9, 1
	v_or_b32_sdwa v27, v27, v28 dst_sel:DWORD dst_unused:UNUSED_PAD src0_sel:WORD_0 src1_sel:DWORD
	v_add_u32_e32 v15, v15, v21
	v_cndmask_b32_e32 v10, v27, v10, vcc
	v_cndmask_b32_e32 v16, v26, v16, vcc
	;; [unrolled: 1-line block ×6, first 2 shown]
	v_cmp_ne_u32_e32 vcc, 0, v15
	v_cndmask_b32_e32 v22, 10, v17, vcc
	v_lshrrev_b32_e32 v23, 8, v17
	v_cmp_ne_u32_e32 vcc, 1, v15
	v_cndmask_b32_e32 v23, 10, v23, vcc
	v_lshlrev_b16_e32 v23, 8, v23
	v_or_b32_sdwa v22, v22, v23 dst_sel:DWORD dst_unused:UNUSED_PAD src0_sel:BYTE_0 src1_sel:DWORD
	v_lshrrev_b32_e32 v23, 24, v17
	v_cmp_ne_u32_e32 vcc, 3, v15
	v_cndmask_b32_e32 v23, 10, v23, vcc
	v_lshrrev_b32_e32 v24, 16, v17
	v_cmp_ne_u32_e32 vcc, 2, v15
	v_lshlrev_b16_e32 v23, 8, v23
	v_cndmask_b32_e32 v24, 10, v24, vcc
	v_or_b32_sdwa v23, v24, v23 dst_sel:WORD_1 dst_unused:UNUSED_PAD src0_sel:BYTE_0 src1_sel:DWORD
	v_cmp_ne_u32_e32 vcc, 4, v15
	v_or_b32_sdwa v22, v22, v23 dst_sel:DWORD dst_unused:UNUSED_PAD src0_sel:WORD_0 src1_sel:DWORD
	v_cndmask_b32_e32 v23, 10, v19, vcc
	v_lshrrev_b32_e32 v24, 8, v19
	v_cmp_ne_u32_e32 vcc, 5, v15
	v_cndmask_b32_e32 v24, 10, v24, vcc
	v_lshlrev_b16_e32 v24, 8, v24
	v_or_b32_sdwa v23, v23, v24 dst_sel:DWORD dst_unused:UNUSED_PAD src0_sel:BYTE_0 src1_sel:DWORD
	v_lshrrev_b32_e32 v24, 24, v19
	v_cmp_ne_u32_e32 vcc, 7, v15
	v_cndmask_b32_e32 v24, 10, v24, vcc
	v_lshrrev_b32_e32 v25, 16, v19
	v_cmp_ne_u32_e32 vcc, 6, v15
	v_lshlrev_b16_e32 v24, 8, v24
	v_cndmask_b32_e32 v25, 10, v25, vcc
	v_or_b32_sdwa v24, v25, v24 dst_sel:WORD_1 dst_unused:UNUSED_PAD src0_sel:BYTE_0 src1_sel:DWORD
	v_cmp_ne_u32_e32 vcc, 8, v15
	v_or_b32_sdwa v23, v23, v24 dst_sel:DWORD dst_unused:UNUSED_PAD src0_sel:WORD_0 src1_sel:DWORD
	v_cndmask_b32_e32 v24, 10, v20, vcc
	v_lshrrev_b32_e32 v25, 8, v20
	v_cmp_ne_u32_e32 vcc, 9, v15
	v_cndmask_b32_e32 v25, 10, v25, vcc
	v_lshlrev_b16_e32 v25, 8, v25
	v_or_b32_sdwa v24, v24, v25 dst_sel:DWORD dst_unused:UNUSED_PAD src0_sel:BYTE_0 src1_sel:DWORD
	v_lshrrev_b32_e32 v25, 24, v20
	v_cmp_ne_u32_e32 vcc, 11, v15
	v_cndmask_b32_e32 v25, 10, v25, vcc
	v_lshrrev_b32_e32 v26, 16, v20
	v_cmp_ne_u32_e32 vcc, 10, v15
	v_lshlrev_b16_e32 v25, 8, v25
	v_cndmask_b32_e32 v26, 10, v26, vcc
	v_or_b32_sdwa v25, v26, v25 dst_sel:WORD_1 dst_unused:UNUSED_PAD src0_sel:BYTE_0 src1_sel:DWORD
	v_cmp_ne_u32_e32 vcc, 12, v15
	v_or_b32_sdwa v24, v24, v25 dst_sel:DWORD dst_unused:UNUSED_PAD src0_sel:WORD_0 src1_sel:DWORD
	v_cndmask_b32_e32 v25, 10, v18, vcc
	v_lshrrev_b32_e32 v26, 8, v18
	v_cmp_ne_u32_e32 vcc, 13, v15
	v_cndmask_b32_e32 v26, 10, v26, vcc
	v_lshlrev_b16_e32 v26, 8, v26
	v_or_b32_sdwa v25, v25, v26 dst_sel:DWORD dst_unused:UNUSED_PAD src0_sel:BYTE_0 src1_sel:DWORD
	v_lshrrev_b32_e32 v26, 24, v18
	v_cmp_ne_u32_e32 vcc, 15, v15
	v_cndmask_b32_e32 v26, 10, v26, vcc
	v_lshrrev_b32_e32 v27, 16, v18
	v_cmp_ne_u32_e32 vcc, 14, v15
	v_lshlrev_b16_e32 v26, 8, v26
	v_cndmask_b32_e32 v27, 10, v27, vcc
	v_or_b32_sdwa v26, v27, v26 dst_sel:WORD_1 dst_unused:UNUSED_PAD src0_sel:BYTE_0 src1_sel:DWORD
	v_cmp_ne_u32_e32 vcc, 16, v15
	v_or_b32_sdwa v25, v25, v26 dst_sel:DWORD dst_unused:UNUSED_PAD src0_sel:WORD_0 src1_sel:DWORD
	v_cndmask_b32_e32 v26, 10, v16, vcc
	v_lshrrev_b32_e32 v27, 8, v16
	v_cmp_ne_u32_e32 vcc, 17, v15
	v_cndmask_b32_e32 v27, 10, v27, vcc
	v_lshlrev_b16_e32 v27, 8, v27
	v_or_b32_sdwa v26, v26, v27 dst_sel:DWORD dst_unused:UNUSED_PAD src0_sel:BYTE_0 src1_sel:DWORD
	v_lshrrev_b32_e32 v27, 24, v16
	v_cmp_ne_u32_e32 vcc, 19, v15
	v_cndmask_b32_e32 v27, 10, v27, vcc
	v_lshrrev_b32_e32 v28, 16, v16
	v_cmp_ne_u32_e32 vcc, 18, v15
	v_lshlrev_b16_e32 v27, 8, v27
	v_cndmask_b32_e32 v28, 10, v28, vcc
	v_or_b32_sdwa v27, v28, v27 dst_sel:WORD_1 dst_unused:UNUSED_PAD src0_sel:BYTE_0 src1_sel:DWORD
	v_cmp_ne_u32_e32 vcc, 20, v15
	v_or_b32_sdwa v26, v26, v27 dst_sel:DWORD dst_unused:UNUSED_PAD src0_sel:WORD_0 src1_sel:DWORD
	v_cndmask_b32_e32 v27, 10, v10, vcc
	v_lshrrev_b32_e32 v28, 8, v10
	v_cmp_ne_u32_e32 vcc, 21, v15
	v_cndmask_b32_e32 v28, 10, v28, vcc
	v_lshlrev_b16_e32 v28, 8, v28
	v_or_b32_sdwa v27, v27, v28 dst_sel:DWORD dst_unused:UNUSED_PAD src0_sel:BYTE_0 src1_sel:DWORD
	v_lshrrev_b32_e32 v28, 24, v10
	v_cmp_ne_u32_e32 vcc, 23, v15
	v_cndmask_b32_e32 v28, 10, v28, vcc
	v_lshrrev_b32_e32 v37, 16, v10
	v_cmp_ne_u32_e32 vcc, 22, v15
	v_and_b32_e32 v21, 0x400, v9
	v_lshlrev_b16_e32 v28, 8, v28
	v_cndmask_b32_e32 v37, 10, v37, vcc
	v_or_b32_sdwa v28, v37, v28 dst_sel:WORD_1 dst_unused:UNUSED_PAD src0_sel:BYTE_0 src1_sel:DWORD
	v_cmp_eq_u32_e32 vcc, 0, v21
	v_bfe_u32 v21, v9, 10, 1
	v_or_b32_sdwa v27, v27, v28 dst_sel:DWORD dst_unused:UNUSED_PAD src0_sel:WORD_0 src1_sel:DWORD
	v_add_u32_e32 v15, v15, v21
	v_cndmask_b32_e32 v10, v27, v10, vcc
	v_cndmask_b32_e32 v16, v26, v16, vcc
	v_cndmask_b32_e32 v18, v25, v18, vcc
	v_cndmask_b32_e32 v20, v24, v20, vcc
	v_cndmask_b32_e32 v19, v23, v19, vcc
	v_cndmask_b32_e32 v17, v22, v17, vcc
	v_cmp_ne_u32_e32 vcc, 0, v15
	v_cndmask_b32_e32 v22, 11, v17, vcc
	v_lshrrev_b32_e32 v23, 8, v17
	v_cmp_ne_u32_e32 vcc, 1, v15
	v_cndmask_b32_e32 v23, 11, v23, vcc
	v_lshlrev_b16_e32 v23, 8, v23
	v_or_b32_sdwa v22, v22, v23 dst_sel:DWORD dst_unused:UNUSED_PAD src0_sel:BYTE_0 src1_sel:DWORD
	v_lshrrev_b32_e32 v23, 24, v17
	v_cmp_ne_u32_e32 vcc, 3, v15
	v_cndmask_b32_e32 v23, 11, v23, vcc
	v_lshrrev_b32_e32 v24, 16, v17
	v_cmp_ne_u32_e32 vcc, 2, v15
	v_lshlrev_b16_e32 v23, 8, v23
	v_cndmask_b32_e32 v24, 11, v24, vcc
	v_or_b32_sdwa v23, v24, v23 dst_sel:WORD_1 dst_unused:UNUSED_PAD src0_sel:BYTE_0 src1_sel:DWORD
	v_cmp_ne_u32_e32 vcc, 4, v15
	v_or_b32_sdwa v22, v22, v23 dst_sel:DWORD dst_unused:UNUSED_PAD src0_sel:WORD_0 src1_sel:DWORD
	v_cndmask_b32_e32 v23, 11, v19, vcc
	v_lshrrev_b32_e32 v24, 8, v19
	v_cmp_ne_u32_e32 vcc, 5, v15
	v_cndmask_b32_e32 v24, 11, v24, vcc
	v_lshlrev_b16_e32 v24, 8, v24
	v_or_b32_sdwa v23, v23, v24 dst_sel:DWORD dst_unused:UNUSED_PAD src0_sel:BYTE_0 src1_sel:DWORD
	v_lshrrev_b32_e32 v24, 24, v19
	v_cmp_ne_u32_e32 vcc, 7, v15
	v_cndmask_b32_e32 v24, 11, v24, vcc
	v_lshrrev_b32_e32 v25, 16, v19
	v_cmp_ne_u32_e32 vcc, 6, v15
	v_lshlrev_b16_e32 v24, 8, v24
	v_cndmask_b32_e32 v25, 11, v25, vcc
	v_or_b32_sdwa v24, v25, v24 dst_sel:WORD_1 dst_unused:UNUSED_PAD src0_sel:BYTE_0 src1_sel:DWORD
	v_cmp_ne_u32_e32 vcc, 8, v15
	v_or_b32_sdwa v23, v23, v24 dst_sel:DWORD dst_unused:UNUSED_PAD src0_sel:WORD_0 src1_sel:DWORD
	;; [unrolled: 16-line block ×5, first 2 shown]
	v_cndmask_b32_e32 v27, 11, v10, vcc
	v_lshrrev_b32_e32 v28, 8, v10
	v_cmp_ne_u32_e32 vcc, 21, v15
	v_cndmask_b32_e32 v28, 11, v28, vcc
	v_lshlrev_b16_e32 v28, 8, v28
	v_or_b32_sdwa v27, v27, v28 dst_sel:DWORD dst_unused:UNUSED_PAD src0_sel:BYTE_0 src1_sel:DWORD
	v_lshrrev_b32_e32 v28, 24, v10
	v_cmp_ne_u32_e32 vcc, 23, v15
	v_cndmask_b32_e32 v28, 11, v28, vcc
	v_lshrrev_b32_e32 v37, 16, v10
	v_cmp_ne_u32_e32 vcc, 22, v15
	v_and_b32_e32 v21, 0x800, v9
	v_lshlrev_b16_e32 v28, 8, v28
	v_cndmask_b32_e32 v37, 11, v37, vcc
	v_or_b32_sdwa v28, v37, v28 dst_sel:WORD_1 dst_unused:UNUSED_PAD src0_sel:BYTE_0 src1_sel:DWORD
	v_cmp_eq_u32_e32 vcc, 0, v21
	v_bfe_u32 v21, v9, 11, 1
	v_or_b32_sdwa v27, v27, v28 dst_sel:DWORD dst_unused:UNUSED_PAD src0_sel:WORD_0 src1_sel:DWORD
	v_add_u32_e32 v15, v15, v21
	v_cndmask_b32_e32 v10, v27, v10, vcc
	v_cndmask_b32_e32 v16, v26, v16, vcc
	;; [unrolled: 1-line block ×6, first 2 shown]
	v_cmp_ne_u32_e32 vcc, 0, v15
	v_cndmask_b32_e32 v22, 12, v17, vcc
	v_lshrrev_b32_e32 v23, 8, v17
	v_cmp_ne_u32_e32 vcc, 1, v15
	v_cndmask_b32_e32 v23, 12, v23, vcc
	v_lshlrev_b16_e32 v23, 8, v23
	v_or_b32_sdwa v22, v22, v23 dst_sel:DWORD dst_unused:UNUSED_PAD src0_sel:BYTE_0 src1_sel:DWORD
	v_lshrrev_b32_e32 v23, 24, v17
	v_cmp_ne_u32_e32 vcc, 3, v15
	v_cndmask_b32_e32 v23, 12, v23, vcc
	v_lshrrev_b32_e32 v24, 16, v17
	v_cmp_ne_u32_e32 vcc, 2, v15
	v_lshlrev_b16_e32 v23, 8, v23
	v_cndmask_b32_e32 v24, 12, v24, vcc
	v_or_b32_sdwa v23, v24, v23 dst_sel:WORD_1 dst_unused:UNUSED_PAD src0_sel:BYTE_0 src1_sel:DWORD
	v_cmp_ne_u32_e32 vcc, 4, v15
	v_or_b32_sdwa v22, v22, v23 dst_sel:DWORD dst_unused:UNUSED_PAD src0_sel:WORD_0 src1_sel:DWORD
	v_cndmask_b32_e32 v23, 12, v19, vcc
	v_lshrrev_b32_e32 v24, 8, v19
	v_cmp_ne_u32_e32 vcc, 5, v15
	v_cndmask_b32_e32 v24, 12, v24, vcc
	v_lshlrev_b16_e32 v24, 8, v24
	v_or_b32_sdwa v23, v23, v24 dst_sel:DWORD dst_unused:UNUSED_PAD src0_sel:BYTE_0 src1_sel:DWORD
	v_lshrrev_b32_e32 v24, 24, v19
	v_cmp_ne_u32_e32 vcc, 7, v15
	v_cndmask_b32_e32 v24, 12, v24, vcc
	v_lshrrev_b32_e32 v25, 16, v19
	v_cmp_ne_u32_e32 vcc, 6, v15
	v_lshlrev_b16_e32 v24, 8, v24
	v_cndmask_b32_e32 v25, 12, v25, vcc
	v_or_b32_sdwa v24, v25, v24 dst_sel:WORD_1 dst_unused:UNUSED_PAD src0_sel:BYTE_0 src1_sel:DWORD
	v_cmp_ne_u32_e32 vcc, 8, v15
	v_or_b32_sdwa v23, v23, v24 dst_sel:DWORD dst_unused:UNUSED_PAD src0_sel:WORD_0 src1_sel:DWORD
	;; [unrolled: 16-line block ×5, first 2 shown]
	v_cndmask_b32_e32 v27, 12, v10, vcc
	v_lshrrev_b32_e32 v28, 8, v10
	v_cmp_ne_u32_e32 vcc, 21, v15
	v_cndmask_b32_e32 v28, 12, v28, vcc
	v_lshlrev_b16_e32 v28, 8, v28
	v_or_b32_sdwa v27, v27, v28 dst_sel:DWORD dst_unused:UNUSED_PAD src0_sel:BYTE_0 src1_sel:DWORD
	v_lshrrev_b32_e32 v28, 24, v10
	v_cmp_ne_u32_e32 vcc, 23, v15
	v_cndmask_b32_e32 v28, 12, v28, vcc
	v_lshrrev_b32_e32 v37, 16, v10
	v_cmp_ne_u32_e32 vcc, 22, v15
	v_and_b32_e32 v21, 0x1000, v9
	v_lshlrev_b16_e32 v28, 8, v28
	v_cndmask_b32_e32 v37, 12, v37, vcc
	v_or_b32_sdwa v28, v37, v28 dst_sel:WORD_1 dst_unused:UNUSED_PAD src0_sel:BYTE_0 src1_sel:DWORD
	v_cmp_eq_u32_e32 vcc, 0, v21
	v_bfe_u32 v21, v9, 12, 1
	v_or_b32_sdwa v27, v27, v28 dst_sel:DWORD dst_unused:UNUSED_PAD src0_sel:WORD_0 src1_sel:DWORD
	v_add_u32_e32 v15, v15, v21
	v_cndmask_b32_e32 v10, v27, v10, vcc
	v_cndmask_b32_e32 v16, v26, v16, vcc
	v_cndmask_b32_e32 v18, v25, v18, vcc
	v_cndmask_b32_e32 v20, v24, v20, vcc
	v_cndmask_b32_e32 v19, v23, v19, vcc
	v_cndmask_b32_e32 v17, v22, v17, vcc
	v_cmp_ne_u32_e32 vcc, 0, v15
	v_cndmask_b32_e32 v22, 13, v17, vcc
	v_lshrrev_b32_e32 v23, 8, v17
	v_cmp_ne_u32_e32 vcc, 1, v15
	v_cndmask_b32_e32 v23, 13, v23, vcc
	v_lshlrev_b16_e32 v23, 8, v23
	v_or_b32_sdwa v22, v22, v23 dst_sel:DWORD dst_unused:UNUSED_PAD src0_sel:BYTE_0 src1_sel:DWORD
	v_lshrrev_b32_e32 v23, 24, v17
	v_cmp_ne_u32_e32 vcc, 3, v15
	v_cndmask_b32_e32 v23, 13, v23, vcc
	v_lshrrev_b32_e32 v24, 16, v17
	v_cmp_ne_u32_e32 vcc, 2, v15
	v_lshlrev_b16_e32 v23, 8, v23
	v_cndmask_b32_e32 v24, 13, v24, vcc
	v_or_b32_sdwa v23, v24, v23 dst_sel:WORD_1 dst_unused:UNUSED_PAD src0_sel:BYTE_0 src1_sel:DWORD
	v_cmp_ne_u32_e32 vcc, 4, v15
	v_or_b32_sdwa v22, v22, v23 dst_sel:DWORD dst_unused:UNUSED_PAD src0_sel:WORD_0 src1_sel:DWORD
	v_cndmask_b32_e32 v23, 13, v19, vcc
	v_lshrrev_b32_e32 v24, 8, v19
	v_cmp_ne_u32_e32 vcc, 5, v15
	v_cndmask_b32_e32 v24, 13, v24, vcc
	v_lshlrev_b16_e32 v24, 8, v24
	v_or_b32_sdwa v23, v23, v24 dst_sel:DWORD dst_unused:UNUSED_PAD src0_sel:BYTE_0 src1_sel:DWORD
	v_lshrrev_b32_e32 v24, 24, v19
	v_cmp_ne_u32_e32 vcc, 7, v15
	v_cndmask_b32_e32 v24, 13, v24, vcc
	v_lshrrev_b32_e32 v25, 16, v19
	v_cmp_ne_u32_e32 vcc, 6, v15
	v_lshlrev_b16_e32 v24, 8, v24
	v_cndmask_b32_e32 v25, 13, v25, vcc
	v_or_b32_sdwa v24, v25, v24 dst_sel:WORD_1 dst_unused:UNUSED_PAD src0_sel:BYTE_0 src1_sel:DWORD
	v_cmp_ne_u32_e32 vcc, 8, v15
	v_or_b32_sdwa v23, v23, v24 dst_sel:DWORD dst_unused:UNUSED_PAD src0_sel:WORD_0 src1_sel:DWORD
	;; [unrolled: 16-line block ×5, first 2 shown]
	v_cndmask_b32_e32 v27, 13, v10, vcc
	v_lshrrev_b32_e32 v28, 8, v10
	v_cmp_ne_u32_e32 vcc, 21, v15
	v_cndmask_b32_e32 v28, 13, v28, vcc
	v_lshlrev_b16_e32 v28, 8, v28
	v_or_b32_sdwa v27, v27, v28 dst_sel:DWORD dst_unused:UNUSED_PAD src0_sel:BYTE_0 src1_sel:DWORD
	v_lshrrev_b32_e32 v28, 24, v10
	v_cmp_ne_u32_e32 vcc, 23, v15
	v_cndmask_b32_e32 v28, 13, v28, vcc
	v_lshrrev_b32_e32 v37, 16, v10
	v_cmp_ne_u32_e32 vcc, 22, v15
	v_and_b32_e32 v21, 0x2000, v9
	v_lshlrev_b16_e32 v28, 8, v28
	v_cndmask_b32_e32 v37, 13, v37, vcc
	v_or_b32_sdwa v28, v37, v28 dst_sel:WORD_1 dst_unused:UNUSED_PAD src0_sel:BYTE_0 src1_sel:DWORD
	v_cmp_eq_u32_e32 vcc, 0, v21
	v_bfe_u32 v21, v9, 13, 1
	v_or_b32_sdwa v27, v27, v28 dst_sel:DWORD dst_unused:UNUSED_PAD src0_sel:WORD_0 src1_sel:DWORD
	v_add_u32_e32 v15, v15, v21
	v_cndmask_b32_e32 v10, v27, v10, vcc
	v_cndmask_b32_e32 v16, v26, v16, vcc
	;; [unrolled: 1-line block ×6, first 2 shown]
	v_cmp_ne_u32_e32 vcc, 0, v15
	v_cndmask_b32_e32 v22, 14, v17, vcc
	v_lshrrev_b32_e32 v23, 8, v17
	v_cmp_ne_u32_e32 vcc, 1, v15
	v_cndmask_b32_e32 v23, 14, v23, vcc
	v_lshlrev_b16_e32 v23, 8, v23
	v_or_b32_sdwa v22, v22, v23 dst_sel:DWORD dst_unused:UNUSED_PAD src0_sel:BYTE_0 src1_sel:DWORD
	v_lshrrev_b32_e32 v23, 24, v17
	v_cmp_ne_u32_e32 vcc, 3, v15
	v_cndmask_b32_e32 v23, 14, v23, vcc
	v_lshrrev_b32_e32 v24, 16, v17
	v_cmp_ne_u32_e32 vcc, 2, v15
	v_lshlrev_b16_e32 v23, 8, v23
	v_cndmask_b32_e32 v24, 14, v24, vcc
	v_or_b32_sdwa v23, v24, v23 dst_sel:WORD_1 dst_unused:UNUSED_PAD src0_sel:BYTE_0 src1_sel:DWORD
	v_cmp_ne_u32_e32 vcc, 4, v15
	v_or_b32_sdwa v22, v22, v23 dst_sel:DWORD dst_unused:UNUSED_PAD src0_sel:WORD_0 src1_sel:DWORD
	v_cndmask_b32_e32 v23, 14, v19, vcc
	v_lshrrev_b32_e32 v24, 8, v19
	v_cmp_ne_u32_e32 vcc, 5, v15
	v_cndmask_b32_e32 v24, 14, v24, vcc
	v_lshlrev_b16_e32 v24, 8, v24
	v_or_b32_sdwa v23, v23, v24 dst_sel:DWORD dst_unused:UNUSED_PAD src0_sel:BYTE_0 src1_sel:DWORD
	v_lshrrev_b32_e32 v24, 24, v19
	v_cmp_ne_u32_e32 vcc, 7, v15
	v_cndmask_b32_e32 v24, 14, v24, vcc
	v_lshrrev_b32_e32 v25, 16, v19
	v_cmp_ne_u32_e32 vcc, 6, v15
	v_lshlrev_b16_e32 v24, 8, v24
	v_cndmask_b32_e32 v25, 14, v25, vcc
	v_or_b32_sdwa v24, v25, v24 dst_sel:WORD_1 dst_unused:UNUSED_PAD src0_sel:BYTE_0 src1_sel:DWORD
	v_cmp_ne_u32_e32 vcc, 8, v15
	v_or_b32_sdwa v23, v23, v24 dst_sel:DWORD dst_unused:UNUSED_PAD src0_sel:WORD_0 src1_sel:DWORD
	;; [unrolled: 16-line block ×5, first 2 shown]
	v_cndmask_b32_e32 v27, 14, v10, vcc
	v_lshrrev_b32_e32 v28, 8, v10
	v_cmp_ne_u32_e32 vcc, 21, v15
	v_cndmask_b32_e32 v28, 14, v28, vcc
	v_lshlrev_b16_e32 v28, 8, v28
	v_or_b32_sdwa v27, v27, v28 dst_sel:DWORD dst_unused:UNUSED_PAD src0_sel:BYTE_0 src1_sel:DWORD
	v_lshrrev_b32_e32 v28, 24, v10
	v_cmp_ne_u32_e32 vcc, 23, v15
	v_cndmask_b32_e32 v28, 14, v28, vcc
	v_lshrrev_b32_e32 v37, 16, v10
	v_cmp_ne_u32_e32 vcc, 22, v15
	v_and_b32_e32 v21, 0x4000, v9
	v_lshlrev_b16_e32 v28, 8, v28
	v_cndmask_b32_e32 v37, 14, v37, vcc
	v_or_b32_sdwa v28, v37, v28 dst_sel:WORD_1 dst_unused:UNUSED_PAD src0_sel:BYTE_0 src1_sel:DWORD
	v_cmp_eq_u32_e32 vcc, 0, v21
	v_bfe_u32 v21, v9, 14, 1
	v_or_b32_sdwa v27, v27, v28 dst_sel:DWORD dst_unused:UNUSED_PAD src0_sel:WORD_0 src1_sel:DWORD
	v_add_u32_e32 v15, v15, v21
	v_cndmask_b32_e32 v10, v27, v10, vcc
	v_cndmask_b32_e32 v16, v26, v16, vcc
	v_cndmask_b32_e32 v18, v25, v18, vcc
	v_cndmask_b32_e32 v20, v24, v20, vcc
	v_cndmask_b32_e32 v19, v23, v19, vcc
	v_cndmask_b32_e32 v17, v22, v17, vcc
	v_cmp_ne_u32_e32 vcc, 0, v15
	v_cndmask_b32_e32 v22, 15, v17, vcc
	v_lshrrev_b32_e32 v23, 8, v17
	v_cmp_ne_u32_e32 vcc, 1, v15
	v_cndmask_b32_e32 v23, 15, v23, vcc
	v_lshlrev_b16_e32 v23, 8, v23
	v_or_b32_sdwa v22, v22, v23 dst_sel:DWORD dst_unused:UNUSED_PAD src0_sel:BYTE_0 src1_sel:DWORD
	v_lshrrev_b32_e32 v23, 24, v17
	v_cmp_ne_u32_e32 vcc, 3, v15
	v_cndmask_b32_e32 v23, 15, v23, vcc
	v_lshrrev_b32_e32 v24, 16, v17
	v_cmp_ne_u32_e32 vcc, 2, v15
	v_lshlrev_b16_e32 v23, 8, v23
	v_cndmask_b32_e32 v24, 15, v24, vcc
	v_or_b32_sdwa v23, v24, v23 dst_sel:WORD_1 dst_unused:UNUSED_PAD src0_sel:BYTE_0 src1_sel:DWORD
	v_cmp_ne_u32_e32 vcc, 4, v15
	v_or_b32_sdwa v22, v22, v23 dst_sel:DWORD dst_unused:UNUSED_PAD src0_sel:WORD_0 src1_sel:DWORD
	v_cndmask_b32_e32 v23, 15, v19, vcc
	v_lshrrev_b32_e32 v24, 8, v19
	v_cmp_ne_u32_e32 vcc, 5, v15
	v_cndmask_b32_e32 v24, 15, v24, vcc
	v_lshlrev_b16_e32 v24, 8, v24
	v_or_b32_sdwa v23, v23, v24 dst_sel:DWORD dst_unused:UNUSED_PAD src0_sel:BYTE_0 src1_sel:DWORD
	v_lshrrev_b32_e32 v24, 24, v19
	v_cmp_ne_u32_e32 vcc, 7, v15
	v_cndmask_b32_e32 v24, 15, v24, vcc
	v_lshrrev_b32_e32 v25, 16, v19
	v_cmp_ne_u32_e32 vcc, 6, v15
	v_lshlrev_b16_e32 v24, 8, v24
	v_cndmask_b32_e32 v25, 15, v25, vcc
	v_or_b32_sdwa v24, v25, v24 dst_sel:WORD_1 dst_unused:UNUSED_PAD src0_sel:BYTE_0 src1_sel:DWORD
	v_cmp_ne_u32_e32 vcc, 8, v15
	v_or_b32_sdwa v23, v23, v24 dst_sel:DWORD dst_unused:UNUSED_PAD src0_sel:WORD_0 src1_sel:DWORD
	;; [unrolled: 16-line block ×5, first 2 shown]
	v_cndmask_b32_e32 v27, 15, v10, vcc
	v_lshrrev_b32_e32 v28, 8, v10
	v_cmp_ne_u32_e32 vcc, 21, v15
	v_cndmask_b32_e32 v28, 15, v28, vcc
	v_lshlrev_b16_e32 v28, 8, v28
	v_or_b32_sdwa v27, v27, v28 dst_sel:DWORD dst_unused:UNUSED_PAD src0_sel:BYTE_0 src1_sel:DWORD
	v_lshrrev_b32_e32 v28, 24, v10
	v_cmp_ne_u32_e32 vcc, 23, v15
	v_cndmask_b32_e32 v28, 15, v28, vcc
	v_lshrrev_b32_e32 v37, 16, v10
	v_cmp_ne_u32_e32 vcc, 22, v15
	v_and_b32_e32 v21, 0x8000, v9
	v_lshlrev_b16_e32 v28, 8, v28
	v_cndmask_b32_e32 v37, 15, v37, vcc
	v_or_b32_sdwa v28, v37, v28 dst_sel:WORD_1 dst_unused:UNUSED_PAD src0_sel:BYTE_0 src1_sel:DWORD
	v_cmp_eq_u32_e32 vcc, 0, v21
	v_bfe_u32 v21, v9, 15, 1
	v_or_b32_sdwa v27, v27, v28 dst_sel:DWORD dst_unused:UNUSED_PAD src0_sel:WORD_0 src1_sel:DWORD
	v_add_u32_e32 v15, v15, v21
	v_cndmask_b32_e32 v10, v27, v10, vcc
	v_cndmask_b32_e32 v16, v26, v16, vcc
	v_cndmask_b32_e32 v18, v25, v18, vcc
	v_cndmask_b32_e32 v20, v24, v20, vcc
	v_cndmask_b32_e32 v19, v23, v19, vcc
	v_cndmask_b32_e32 v17, v22, v17, vcc
	v_cmp_ne_u32_e32 vcc, 0, v15
	v_cndmask_b32_e32 v22, 16, v17, vcc
	v_lshrrev_b32_e32 v23, 8, v17
	v_cmp_ne_u32_e32 vcc, 1, v15
	v_cndmask_b32_e32 v23, 16, v23, vcc
	v_lshlrev_b16_e32 v23, 8, v23
	v_or_b32_sdwa v22, v22, v23 dst_sel:DWORD dst_unused:UNUSED_PAD src0_sel:BYTE_0 src1_sel:DWORD
	v_lshrrev_b32_e32 v23, 24, v17
	v_cmp_ne_u32_e32 vcc, 3, v15
	v_cndmask_b32_e32 v23, 16, v23, vcc
	v_lshrrev_b32_e32 v24, 16, v17
	v_cmp_ne_u32_e32 vcc, 2, v15
	v_lshlrev_b16_e32 v23, 8, v23
	v_cndmask_b32_e32 v24, 16, v24, vcc
	v_or_b32_sdwa v23, v24, v23 dst_sel:WORD_1 dst_unused:UNUSED_PAD src0_sel:BYTE_0 src1_sel:DWORD
	v_cmp_ne_u32_e32 vcc, 4, v15
	v_or_b32_sdwa v22, v22, v23 dst_sel:DWORD dst_unused:UNUSED_PAD src0_sel:WORD_0 src1_sel:DWORD
	v_cndmask_b32_e32 v23, 16, v19, vcc
	v_lshrrev_b32_e32 v24, 8, v19
	v_cmp_ne_u32_e32 vcc, 5, v15
	v_cndmask_b32_e32 v24, 16, v24, vcc
	v_lshlrev_b16_e32 v24, 8, v24
	v_or_b32_sdwa v23, v23, v24 dst_sel:DWORD dst_unused:UNUSED_PAD src0_sel:BYTE_0 src1_sel:DWORD
	v_lshrrev_b32_e32 v24, 24, v19
	v_cmp_ne_u32_e32 vcc, 7, v15
	v_cndmask_b32_e32 v24, 16, v24, vcc
	v_lshrrev_b32_e32 v25, 16, v19
	v_cmp_ne_u32_e32 vcc, 6, v15
	v_lshlrev_b16_e32 v24, 8, v24
	v_cndmask_b32_e32 v25, 16, v25, vcc
	v_or_b32_sdwa v24, v25, v24 dst_sel:WORD_1 dst_unused:UNUSED_PAD src0_sel:BYTE_0 src1_sel:DWORD
	v_cmp_ne_u32_e32 vcc, 8, v15
	v_or_b32_sdwa v23, v23, v24 dst_sel:DWORD dst_unused:UNUSED_PAD src0_sel:WORD_0 src1_sel:DWORD
	;; [unrolled: 16-line block ×5, first 2 shown]
	v_cndmask_b32_e32 v27, 16, v10, vcc
	v_lshrrev_b32_e32 v28, 8, v10
	v_cmp_ne_u32_e32 vcc, 21, v15
	v_cndmask_b32_e32 v28, 16, v28, vcc
	v_lshlrev_b16_e32 v28, 8, v28
	v_or_b32_sdwa v27, v27, v28 dst_sel:DWORD dst_unused:UNUSED_PAD src0_sel:BYTE_0 src1_sel:DWORD
	v_lshrrev_b32_e32 v28, 24, v10
	v_cmp_ne_u32_e32 vcc, 23, v15
	v_cndmask_b32_e32 v28, 16, v28, vcc
	v_lshrrev_b32_e32 v37, 16, v10
	v_cmp_ne_u32_e32 vcc, 22, v15
	v_and_b32_e32 v21, 0x10000, v9
	v_lshlrev_b16_e32 v28, 8, v28
	v_cndmask_b32_e32 v37, 16, v37, vcc
	v_or_b32_sdwa v28, v37, v28 dst_sel:WORD_1 dst_unused:UNUSED_PAD src0_sel:BYTE_0 src1_sel:DWORD
	v_cmp_eq_u32_e32 vcc, 0, v21
	v_bfe_u32 v21, v9, 16, 1
	v_or_b32_sdwa v27, v27, v28 dst_sel:DWORD dst_unused:UNUSED_PAD src0_sel:WORD_0 src1_sel:DWORD
	v_add_u32_e32 v15, v15, v21
	v_cndmask_b32_e32 v10, v27, v10, vcc
	v_cndmask_b32_e32 v16, v26, v16, vcc
	;; [unrolled: 1-line block ×6, first 2 shown]
	v_cmp_ne_u32_e32 vcc, 0, v15
	v_cndmask_b32_e32 v22, 17, v17, vcc
	v_lshrrev_b32_e32 v23, 8, v17
	v_cmp_ne_u32_e32 vcc, 1, v15
	v_cndmask_b32_e32 v23, 17, v23, vcc
	v_lshlrev_b16_e32 v23, 8, v23
	v_or_b32_sdwa v22, v22, v23 dst_sel:DWORD dst_unused:UNUSED_PAD src0_sel:BYTE_0 src1_sel:DWORD
	v_lshrrev_b32_e32 v23, 24, v17
	v_cmp_ne_u32_e32 vcc, 3, v15
	v_cndmask_b32_e32 v23, 17, v23, vcc
	v_lshrrev_b32_e32 v24, 16, v17
	v_cmp_ne_u32_e32 vcc, 2, v15
	v_lshlrev_b16_e32 v23, 8, v23
	v_cndmask_b32_e32 v24, 17, v24, vcc
	v_or_b32_sdwa v23, v24, v23 dst_sel:WORD_1 dst_unused:UNUSED_PAD src0_sel:BYTE_0 src1_sel:DWORD
	v_cmp_ne_u32_e32 vcc, 4, v15
	v_or_b32_sdwa v22, v22, v23 dst_sel:DWORD dst_unused:UNUSED_PAD src0_sel:WORD_0 src1_sel:DWORD
	v_cndmask_b32_e32 v23, 17, v19, vcc
	v_lshrrev_b32_e32 v24, 8, v19
	v_cmp_ne_u32_e32 vcc, 5, v15
	v_cndmask_b32_e32 v24, 17, v24, vcc
	v_lshlrev_b16_e32 v24, 8, v24
	v_or_b32_sdwa v23, v23, v24 dst_sel:DWORD dst_unused:UNUSED_PAD src0_sel:BYTE_0 src1_sel:DWORD
	v_lshrrev_b32_e32 v24, 24, v19
	v_cmp_ne_u32_e32 vcc, 7, v15
	v_cndmask_b32_e32 v24, 17, v24, vcc
	v_lshrrev_b32_e32 v25, 16, v19
	v_cmp_ne_u32_e32 vcc, 6, v15
	v_lshlrev_b16_e32 v24, 8, v24
	v_cndmask_b32_e32 v25, 17, v25, vcc
	v_or_b32_sdwa v24, v25, v24 dst_sel:WORD_1 dst_unused:UNUSED_PAD src0_sel:BYTE_0 src1_sel:DWORD
	v_cmp_ne_u32_e32 vcc, 8, v15
	v_or_b32_sdwa v23, v23, v24 dst_sel:DWORD dst_unused:UNUSED_PAD src0_sel:WORD_0 src1_sel:DWORD
	;; [unrolled: 16-line block ×5, first 2 shown]
	v_cndmask_b32_e32 v27, 17, v10, vcc
	v_lshrrev_b32_e32 v28, 8, v10
	v_cmp_ne_u32_e32 vcc, 21, v15
	v_cndmask_b32_e32 v28, 17, v28, vcc
	v_lshlrev_b16_e32 v28, 8, v28
	v_or_b32_sdwa v27, v27, v28 dst_sel:DWORD dst_unused:UNUSED_PAD src0_sel:BYTE_0 src1_sel:DWORD
	v_lshrrev_b32_e32 v28, 24, v10
	v_cmp_ne_u32_e32 vcc, 23, v15
	v_cndmask_b32_e32 v28, 17, v28, vcc
	v_lshrrev_b32_e32 v37, 16, v10
	v_cmp_ne_u32_e32 vcc, 22, v15
	v_and_b32_e32 v21, 0x20000, v9
	v_lshlrev_b16_e32 v28, 8, v28
	v_cndmask_b32_e32 v37, 17, v37, vcc
	v_or_b32_sdwa v28, v37, v28 dst_sel:WORD_1 dst_unused:UNUSED_PAD src0_sel:BYTE_0 src1_sel:DWORD
	v_cmp_eq_u32_e32 vcc, 0, v21
	v_bfe_u32 v21, v9, 17, 1
	v_or_b32_sdwa v27, v27, v28 dst_sel:DWORD dst_unused:UNUSED_PAD src0_sel:WORD_0 src1_sel:DWORD
	v_add_u32_e32 v15, v15, v21
	v_cndmask_b32_e32 v10, v27, v10, vcc
	v_cndmask_b32_e32 v16, v26, v16, vcc
	;; [unrolled: 1-line block ×6, first 2 shown]
	v_cmp_ne_u32_e32 vcc, 0, v15
	v_cndmask_b32_e32 v22, 18, v17, vcc
	v_lshrrev_b32_e32 v23, 8, v17
	v_cmp_ne_u32_e32 vcc, 1, v15
	v_cndmask_b32_e32 v23, 18, v23, vcc
	v_lshlrev_b16_e32 v23, 8, v23
	v_or_b32_sdwa v22, v22, v23 dst_sel:DWORD dst_unused:UNUSED_PAD src0_sel:BYTE_0 src1_sel:DWORD
	v_lshrrev_b32_e32 v23, 24, v17
	v_cmp_ne_u32_e32 vcc, 3, v15
	v_cndmask_b32_e32 v23, 18, v23, vcc
	v_lshrrev_b32_e32 v24, 16, v17
	v_cmp_ne_u32_e32 vcc, 2, v15
	v_lshlrev_b16_e32 v23, 8, v23
	v_cndmask_b32_e32 v24, 18, v24, vcc
	v_or_b32_sdwa v23, v24, v23 dst_sel:WORD_1 dst_unused:UNUSED_PAD src0_sel:BYTE_0 src1_sel:DWORD
	v_cmp_ne_u32_e32 vcc, 4, v15
	v_or_b32_sdwa v22, v22, v23 dst_sel:DWORD dst_unused:UNUSED_PAD src0_sel:WORD_0 src1_sel:DWORD
	v_cndmask_b32_e32 v23, 18, v19, vcc
	v_lshrrev_b32_e32 v24, 8, v19
	v_cmp_ne_u32_e32 vcc, 5, v15
	v_cndmask_b32_e32 v24, 18, v24, vcc
	v_lshlrev_b16_e32 v24, 8, v24
	v_or_b32_sdwa v23, v23, v24 dst_sel:DWORD dst_unused:UNUSED_PAD src0_sel:BYTE_0 src1_sel:DWORD
	v_lshrrev_b32_e32 v24, 24, v19
	v_cmp_ne_u32_e32 vcc, 7, v15
	v_cndmask_b32_e32 v24, 18, v24, vcc
	v_lshrrev_b32_e32 v25, 16, v19
	v_cmp_ne_u32_e32 vcc, 6, v15
	v_lshlrev_b16_e32 v24, 8, v24
	v_cndmask_b32_e32 v25, 18, v25, vcc
	v_or_b32_sdwa v24, v25, v24 dst_sel:WORD_1 dst_unused:UNUSED_PAD src0_sel:BYTE_0 src1_sel:DWORD
	v_cmp_ne_u32_e32 vcc, 8, v15
	v_or_b32_sdwa v23, v23, v24 dst_sel:DWORD dst_unused:UNUSED_PAD src0_sel:WORD_0 src1_sel:DWORD
	;; [unrolled: 16-line block ×5, first 2 shown]
	v_cndmask_b32_e32 v27, 18, v10, vcc
	v_lshrrev_b32_e32 v28, 8, v10
	v_cmp_ne_u32_e32 vcc, 21, v15
	v_cndmask_b32_e32 v28, 18, v28, vcc
	v_lshlrev_b16_e32 v28, 8, v28
	v_or_b32_sdwa v27, v27, v28 dst_sel:DWORD dst_unused:UNUSED_PAD src0_sel:BYTE_0 src1_sel:DWORD
	v_lshrrev_b32_e32 v28, 24, v10
	v_cmp_ne_u32_e32 vcc, 23, v15
	v_cndmask_b32_e32 v28, 18, v28, vcc
	v_lshrrev_b32_e32 v37, 16, v10
	v_cmp_ne_u32_e32 vcc, 22, v15
	v_and_b32_e32 v21, 0x40000, v9
	v_lshlrev_b16_e32 v28, 8, v28
	v_cndmask_b32_e32 v37, 18, v37, vcc
	v_or_b32_sdwa v28, v37, v28 dst_sel:WORD_1 dst_unused:UNUSED_PAD src0_sel:BYTE_0 src1_sel:DWORD
	v_cmp_eq_u32_e32 vcc, 0, v21
	v_bfe_u32 v21, v9, 18, 1
	v_or_b32_sdwa v27, v27, v28 dst_sel:DWORD dst_unused:UNUSED_PAD src0_sel:WORD_0 src1_sel:DWORD
	v_add_u32_e32 v15, v15, v21
	v_cndmask_b32_e32 v10, v27, v10, vcc
	v_cndmask_b32_e32 v16, v26, v16, vcc
	;; [unrolled: 1-line block ×6, first 2 shown]
	v_cmp_ne_u32_e32 vcc, 0, v15
	v_cndmask_b32_e32 v22, 19, v17, vcc
	v_lshrrev_b32_e32 v23, 8, v17
	v_cmp_ne_u32_e32 vcc, 1, v15
	v_cndmask_b32_e32 v23, 19, v23, vcc
	v_lshlrev_b16_e32 v23, 8, v23
	v_or_b32_sdwa v22, v22, v23 dst_sel:DWORD dst_unused:UNUSED_PAD src0_sel:BYTE_0 src1_sel:DWORD
	v_lshrrev_b32_e32 v23, 24, v17
	v_cmp_ne_u32_e32 vcc, 3, v15
	v_cndmask_b32_e32 v23, 19, v23, vcc
	v_lshrrev_b32_e32 v24, 16, v17
	v_cmp_ne_u32_e32 vcc, 2, v15
	v_lshlrev_b16_e32 v23, 8, v23
	v_cndmask_b32_e32 v24, 19, v24, vcc
	v_or_b32_sdwa v23, v24, v23 dst_sel:WORD_1 dst_unused:UNUSED_PAD src0_sel:BYTE_0 src1_sel:DWORD
	v_cmp_ne_u32_e32 vcc, 4, v15
	v_or_b32_sdwa v22, v22, v23 dst_sel:DWORD dst_unused:UNUSED_PAD src0_sel:WORD_0 src1_sel:DWORD
	v_cndmask_b32_e32 v23, 19, v19, vcc
	v_lshrrev_b32_e32 v24, 8, v19
	v_cmp_ne_u32_e32 vcc, 5, v15
	v_cndmask_b32_e32 v24, 19, v24, vcc
	v_lshlrev_b16_e32 v24, 8, v24
	v_or_b32_sdwa v23, v23, v24 dst_sel:DWORD dst_unused:UNUSED_PAD src0_sel:BYTE_0 src1_sel:DWORD
	v_lshrrev_b32_e32 v24, 24, v19
	v_cmp_ne_u32_e32 vcc, 7, v15
	v_cndmask_b32_e32 v24, 19, v24, vcc
	v_lshrrev_b32_e32 v25, 16, v19
	v_cmp_ne_u32_e32 vcc, 6, v15
	v_lshlrev_b16_e32 v24, 8, v24
	v_cndmask_b32_e32 v25, 19, v25, vcc
	v_or_b32_sdwa v24, v25, v24 dst_sel:WORD_1 dst_unused:UNUSED_PAD src0_sel:BYTE_0 src1_sel:DWORD
	v_cmp_ne_u32_e32 vcc, 8, v15
	v_or_b32_sdwa v23, v23, v24 dst_sel:DWORD dst_unused:UNUSED_PAD src0_sel:WORD_0 src1_sel:DWORD
	;; [unrolled: 16-line block ×5, first 2 shown]
	v_cndmask_b32_e32 v27, 19, v10, vcc
	v_lshrrev_b32_e32 v28, 8, v10
	v_cmp_ne_u32_e32 vcc, 21, v15
	v_cndmask_b32_e32 v28, 19, v28, vcc
	v_lshlrev_b16_e32 v28, 8, v28
	v_or_b32_sdwa v27, v27, v28 dst_sel:DWORD dst_unused:UNUSED_PAD src0_sel:BYTE_0 src1_sel:DWORD
	v_lshrrev_b32_e32 v28, 24, v10
	v_cmp_ne_u32_e32 vcc, 23, v15
	v_cndmask_b32_e32 v28, 19, v28, vcc
	v_lshrrev_b32_e32 v37, 16, v10
	v_cmp_ne_u32_e32 vcc, 22, v15
	v_and_b32_e32 v21, 0x80000, v9
	v_lshlrev_b16_e32 v28, 8, v28
	v_cndmask_b32_e32 v37, 19, v37, vcc
	v_or_b32_sdwa v28, v37, v28 dst_sel:WORD_1 dst_unused:UNUSED_PAD src0_sel:BYTE_0 src1_sel:DWORD
	v_cmp_eq_u32_e32 vcc, 0, v21
	v_bfe_u32 v21, v9, 19, 1
	v_or_b32_sdwa v27, v27, v28 dst_sel:DWORD dst_unused:UNUSED_PAD src0_sel:WORD_0 src1_sel:DWORD
	v_add_u32_e32 v15, v15, v21
	v_cndmask_b32_e32 v10, v27, v10, vcc
	v_cndmask_b32_e32 v16, v26, v16, vcc
	;; [unrolled: 1-line block ×6, first 2 shown]
	v_cmp_ne_u32_e32 vcc, 0, v15
	v_cndmask_b32_e32 v22, 20, v17, vcc
	v_lshrrev_b32_e32 v23, 8, v17
	v_cmp_ne_u32_e32 vcc, 1, v15
	v_cndmask_b32_e32 v23, 20, v23, vcc
	v_lshlrev_b16_e32 v23, 8, v23
	v_or_b32_sdwa v22, v22, v23 dst_sel:DWORD dst_unused:UNUSED_PAD src0_sel:BYTE_0 src1_sel:DWORD
	v_lshrrev_b32_e32 v23, 24, v17
	v_cmp_ne_u32_e32 vcc, 3, v15
	v_cndmask_b32_e32 v23, 20, v23, vcc
	v_lshrrev_b32_e32 v24, 16, v17
	v_cmp_ne_u32_e32 vcc, 2, v15
	v_lshlrev_b16_e32 v23, 8, v23
	v_cndmask_b32_e32 v24, 20, v24, vcc
	v_or_b32_sdwa v23, v24, v23 dst_sel:WORD_1 dst_unused:UNUSED_PAD src0_sel:BYTE_0 src1_sel:DWORD
	v_cmp_ne_u32_e32 vcc, 4, v15
	v_or_b32_sdwa v22, v22, v23 dst_sel:DWORD dst_unused:UNUSED_PAD src0_sel:WORD_0 src1_sel:DWORD
	v_cndmask_b32_e32 v23, 20, v19, vcc
	v_lshrrev_b32_e32 v24, 8, v19
	v_cmp_ne_u32_e32 vcc, 5, v15
	v_cndmask_b32_e32 v24, 20, v24, vcc
	v_lshlrev_b16_e32 v24, 8, v24
	v_or_b32_sdwa v23, v23, v24 dst_sel:DWORD dst_unused:UNUSED_PAD src0_sel:BYTE_0 src1_sel:DWORD
	v_lshrrev_b32_e32 v24, 24, v19
	v_cmp_ne_u32_e32 vcc, 7, v15
	v_cndmask_b32_e32 v24, 20, v24, vcc
	v_lshrrev_b32_e32 v25, 16, v19
	v_cmp_ne_u32_e32 vcc, 6, v15
	v_lshlrev_b16_e32 v24, 8, v24
	v_cndmask_b32_e32 v25, 20, v25, vcc
	v_or_b32_sdwa v24, v25, v24 dst_sel:WORD_1 dst_unused:UNUSED_PAD src0_sel:BYTE_0 src1_sel:DWORD
	v_cmp_ne_u32_e32 vcc, 8, v15
	v_or_b32_sdwa v23, v23, v24 dst_sel:DWORD dst_unused:UNUSED_PAD src0_sel:WORD_0 src1_sel:DWORD
	;; [unrolled: 16-line block ×5, first 2 shown]
	v_cndmask_b32_e32 v27, 20, v10, vcc
	v_lshrrev_b32_e32 v28, 8, v10
	v_cmp_ne_u32_e32 vcc, 21, v15
	v_cndmask_b32_e32 v28, 20, v28, vcc
	v_lshlrev_b16_e32 v28, 8, v28
	v_or_b32_sdwa v27, v27, v28 dst_sel:DWORD dst_unused:UNUSED_PAD src0_sel:BYTE_0 src1_sel:DWORD
	v_lshrrev_b32_e32 v28, 24, v10
	v_cmp_ne_u32_e32 vcc, 23, v15
	v_cndmask_b32_e32 v28, 20, v28, vcc
	v_lshrrev_b32_e32 v37, 16, v10
	v_cmp_ne_u32_e32 vcc, 22, v15
	v_and_b32_e32 v21, 0x100000, v9
	v_lshlrev_b16_e32 v28, 8, v28
	v_cndmask_b32_e32 v37, 20, v37, vcc
	v_or_b32_sdwa v28, v37, v28 dst_sel:WORD_1 dst_unused:UNUSED_PAD src0_sel:BYTE_0 src1_sel:DWORD
	v_cmp_eq_u32_e32 vcc, 0, v21
	v_bfe_u32 v21, v9, 20, 1
	v_or_b32_sdwa v27, v27, v28 dst_sel:DWORD dst_unused:UNUSED_PAD src0_sel:WORD_0 src1_sel:DWORD
	v_add_u32_e32 v15, v15, v21
	v_cndmask_b32_e32 v10, v27, v10, vcc
	v_cndmask_b32_e32 v16, v26, v16, vcc
	;; [unrolled: 1-line block ×6, first 2 shown]
	v_cmp_ne_u32_e32 vcc, 0, v15
	v_cndmask_b32_e32 v22, 21, v17, vcc
	v_lshrrev_b32_e32 v23, 8, v17
	v_cmp_ne_u32_e32 vcc, 1, v15
	v_cndmask_b32_e32 v23, 21, v23, vcc
	v_lshlrev_b16_e32 v23, 8, v23
	v_or_b32_sdwa v22, v22, v23 dst_sel:DWORD dst_unused:UNUSED_PAD src0_sel:BYTE_0 src1_sel:DWORD
	v_lshrrev_b32_e32 v23, 24, v17
	v_cmp_ne_u32_e32 vcc, 3, v15
	v_cndmask_b32_e32 v23, 21, v23, vcc
	v_lshrrev_b32_e32 v24, 16, v17
	v_cmp_ne_u32_e32 vcc, 2, v15
	v_lshlrev_b16_e32 v23, 8, v23
	v_cndmask_b32_e32 v24, 21, v24, vcc
	v_or_b32_sdwa v23, v24, v23 dst_sel:WORD_1 dst_unused:UNUSED_PAD src0_sel:BYTE_0 src1_sel:DWORD
	v_cmp_ne_u32_e32 vcc, 4, v15
	v_or_b32_sdwa v22, v22, v23 dst_sel:DWORD dst_unused:UNUSED_PAD src0_sel:WORD_0 src1_sel:DWORD
	v_cndmask_b32_e32 v23, 21, v19, vcc
	v_lshrrev_b32_e32 v24, 8, v19
	v_cmp_ne_u32_e32 vcc, 5, v15
	v_cndmask_b32_e32 v24, 21, v24, vcc
	v_lshlrev_b16_e32 v24, 8, v24
	v_or_b32_sdwa v23, v23, v24 dst_sel:DWORD dst_unused:UNUSED_PAD src0_sel:BYTE_0 src1_sel:DWORD
	v_lshrrev_b32_e32 v24, 24, v19
	v_cmp_ne_u32_e32 vcc, 7, v15
	v_cndmask_b32_e32 v24, 21, v24, vcc
	v_lshrrev_b32_e32 v25, 16, v19
	v_cmp_ne_u32_e32 vcc, 6, v15
	v_lshlrev_b16_e32 v24, 8, v24
	v_cndmask_b32_e32 v25, 21, v25, vcc
	v_or_b32_sdwa v24, v25, v24 dst_sel:WORD_1 dst_unused:UNUSED_PAD src0_sel:BYTE_0 src1_sel:DWORD
	v_cmp_ne_u32_e32 vcc, 8, v15
	v_or_b32_sdwa v23, v23, v24 dst_sel:DWORD dst_unused:UNUSED_PAD src0_sel:WORD_0 src1_sel:DWORD
	;; [unrolled: 16-line block ×5, first 2 shown]
	v_cndmask_b32_e32 v27, 21, v10, vcc
	v_lshrrev_b32_e32 v28, 8, v10
	v_cmp_ne_u32_e32 vcc, 21, v15
	v_cndmask_b32_e32 v28, 21, v28, vcc
	v_lshlrev_b16_e32 v28, 8, v28
	v_or_b32_sdwa v27, v27, v28 dst_sel:DWORD dst_unused:UNUSED_PAD src0_sel:BYTE_0 src1_sel:DWORD
	v_lshrrev_b32_e32 v28, 24, v10
	v_cmp_ne_u32_e32 vcc, 23, v15
	v_cndmask_b32_e32 v28, 21, v28, vcc
	v_lshrrev_b32_e32 v37, 16, v10
	v_cmp_ne_u32_e32 vcc, 22, v15
	v_and_b32_e32 v21, 0x200000, v9
	v_lshlrev_b16_e32 v28, 8, v28
	v_cndmask_b32_e32 v37, 21, v37, vcc
	v_or_b32_sdwa v28, v37, v28 dst_sel:WORD_1 dst_unused:UNUSED_PAD src0_sel:BYTE_0 src1_sel:DWORD
	v_cmp_eq_u32_e32 vcc, 0, v21
	v_bfe_u32 v21, v9, 21, 1
	v_or_b32_sdwa v27, v27, v28 dst_sel:DWORD dst_unused:UNUSED_PAD src0_sel:WORD_0 src1_sel:DWORD
	v_add_u32_e32 v15, v15, v21
	v_cndmask_b32_e32 v10, v27, v10, vcc
	v_cndmask_b32_e32 v16, v26, v16, vcc
	;; [unrolled: 1-line block ×6, first 2 shown]
	v_cmp_ne_u32_e32 vcc, 0, v15
	v_cndmask_b32_e32 v22, 22, v17, vcc
	v_lshrrev_b32_e32 v23, 8, v17
	v_cmp_ne_u32_e32 vcc, 1, v15
	v_cndmask_b32_e32 v23, 22, v23, vcc
	v_lshlrev_b16_e32 v23, 8, v23
	v_or_b32_sdwa v22, v22, v23 dst_sel:DWORD dst_unused:UNUSED_PAD src0_sel:BYTE_0 src1_sel:DWORD
	v_lshrrev_b32_e32 v23, 24, v17
	v_cmp_ne_u32_e32 vcc, 3, v15
	v_cndmask_b32_e32 v23, 22, v23, vcc
	v_lshrrev_b32_e32 v24, 16, v17
	v_cmp_ne_u32_e32 vcc, 2, v15
	v_lshlrev_b16_e32 v23, 8, v23
	v_cndmask_b32_e32 v24, 22, v24, vcc
	v_or_b32_sdwa v23, v24, v23 dst_sel:WORD_1 dst_unused:UNUSED_PAD src0_sel:BYTE_0 src1_sel:DWORD
	v_cmp_ne_u32_e32 vcc, 4, v15
	v_or_b32_sdwa v22, v22, v23 dst_sel:DWORD dst_unused:UNUSED_PAD src0_sel:WORD_0 src1_sel:DWORD
	v_cndmask_b32_e32 v23, 22, v19, vcc
	v_lshrrev_b32_e32 v24, 8, v19
	v_cmp_ne_u32_e32 vcc, 5, v15
	v_cndmask_b32_e32 v24, 22, v24, vcc
	v_lshlrev_b16_e32 v24, 8, v24
	v_or_b32_sdwa v23, v23, v24 dst_sel:DWORD dst_unused:UNUSED_PAD src0_sel:BYTE_0 src1_sel:DWORD
	v_lshrrev_b32_e32 v24, 24, v19
	v_cmp_ne_u32_e32 vcc, 7, v15
	v_cndmask_b32_e32 v24, 22, v24, vcc
	v_lshrrev_b32_e32 v25, 16, v19
	v_cmp_ne_u32_e32 vcc, 6, v15
	v_lshlrev_b16_e32 v24, 8, v24
	v_cndmask_b32_e32 v25, 22, v25, vcc
	v_or_b32_sdwa v24, v25, v24 dst_sel:WORD_1 dst_unused:UNUSED_PAD src0_sel:BYTE_0 src1_sel:DWORD
	v_cmp_ne_u32_e32 vcc, 8, v15
	v_or_b32_sdwa v23, v23, v24 dst_sel:DWORD dst_unused:UNUSED_PAD src0_sel:WORD_0 src1_sel:DWORD
	v_cndmask_b32_e32 v24, 22, v20, vcc
	v_lshrrev_b32_e32 v25, 8, v20
	v_cmp_ne_u32_e32 vcc, 9, v15
	v_cndmask_b32_e32 v25, 22, v25, vcc
	v_lshlrev_b16_e32 v25, 8, v25
	v_or_b32_sdwa v24, v24, v25 dst_sel:DWORD dst_unused:UNUSED_PAD src0_sel:BYTE_0 src1_sel:DWORD
	v_lshrrev_b32_e32 v25, 24, v20
	v_cmp_ne_u32_e32 vcc, 11, v15
	v_cndmask_b32_e32 v25, 22, v25, vcc
	v_lshrrev_b32_e32 v26, 16, v20
	v_cmp_ne_u32_e32 vcc, 10, v15
	v_lshlrev_b16_e32 v25, 8, v25
	v_cndmask_b32_e32 v26, 22, v26, vcc
	v_or_b32_sdwa v25, v26, v25 dst_sel:WORD_1 dst_unused:UNUSED_PAD src0_sel:BYTE_0 src1_sel:DWORD
	v_cmp_ne_u32_e32 vcc, 12, v15
	v_or_b32_sdwa v24, v24, v25 dst_sel:DWORD dst_unused:UNUSED_PAD src0_sel:WORD_0 src1_sel:DWORD
	v_cndmask_b32_e32 v25, 22, v18, vcc
	v_lshrrev_b32_e32 v26, 8, v18
	v_cmp_ne_u32_e32 vcc, 13, v15
	v_cndmask_b32_e32 v26, 22, v26, vcc
	v_lshlrev_b16_e32 v26, 8, v26
	v_or_b32_sdwa v25, v25, v26 dst_sel:DWORD dst_unused:UNUSED_PAD src0_sel:BYTE_0 src1_sel:DWORD
	v_lshrrev_b32_e32 v26, 24, v18
	v_cmp_ne_u32_e32 vcc, 15, v15
	v_cndmask_b32_e32 v26, 22, v26, vcc
	v_lshrrev_b32_e32 v27, 16, v18
	v_cmp_ne_u32_e32 vcc, 14, v15
	v_lshlrev_b16_e32 v26, 8, v26
	v_cndmask_b32_e32 v27, 22, v27, vcc
	v_or_b32_sdwa v26, v27, v26 dst_sel:WORD_1 dst_unused:UNUSED_PAD src0_sel:BYTE_0 src1_sel:DWORD
	v_cmp_ne_u32_e32 vcc, 16, v15
	v_or_b32_sdwa v25, v25, v26 dst_sel:DWORD dst_unused:UNUSED_PAD src0_sel:WORD_0 src1_sel:DWORD
	v_cndmask_b32_e32 v26, 22, v16, vcc
	v_lshrrev_b32_e32 v27, 8, v16
	v_cmp_ne_u32_e32 vcc, 17, v15
	v_cndmask_b32_e32 v27, 22, v27, vcc
	v_lshlrev_b16_e32 v27, 8, v27
	v_or_b32_sdwa v26, v26, v27 dst_sel:DWORD dst_unused:UNUSED_PAD src0_sel:BYTE_0 src1_sel:DWORD
	v_lshrrev_b32_e32 v27, 24, v16
	v_cmp_ne_u32_e32 vcc, 19, v15
	v_cndmask_b32_e32 v27, 22, v27, vcc
	v_lshrrev_b32_e32 v28, 16, v16
	v_cmp_ne_u32_e32 vcc, 18, v15
	v_lshlrev_b16_e32 v27, 8, v27
	v_cndmask_b32_e32 v28, 22, v28, vcc
	v_or_b32_sdwa v27, v28, v27 dst_sel:WORD_1 dst_unused:UNUSED_PAD src0_sel:BYTE_0 src1_sel:DWORD
	v_cmp_ne_u32_e32 vcc, 20, v15
	v_or_b32_sdwa v26, v26, v27 dst_sel:DWORD dst_unused:UNUSED_PAD src0_sel:WORD_0 src1_sel:DWORD
	v_cndmask_b32_e32 v27, 22, v10, vcc
	v_lshrrev_b32_e32 v28, 8, v10
	v_cmp_ne_u32_e32 vcc, 21, v15
	v_cndmask_b32_e32 v28, 22, v28, vcc
	v_lshlrev_b16_e32 v28, 8, v28
	v_or_b32_sdwa v27, v27, v28 dst_sel:DWORD dst_unused:UNUSED_PAD src0_sel:BYTE_0 src1_sel:DWORD
	v_lshrrev_b32_e32 v28, 24, v10
	v_cmp_ne_u32_e32 vcc, 23, v15
	v_cndmask_b32_e32 v28, 22, v28, vcc
	v_lshrrev_b32_e32 v37, 16, v10
	v_cmp_ne_u32_e32 vcc, 22, v15
	v_and_b32_e32 v21, 0x400000, v9
	v_lshlrev_b16_e32 v28, 8, v28
	v_cndmask_b32_e32 v37, 22, v37, vcc
	v_or_b32_sdwa v28, v37, v28 dst_sel:WORD_1 dst_unused:UNUSED_PAD src0_sel:BYTE_0 src1_sel:DWORD
	v_cmp_eq_u32_e32 vcc, 0, v21
	v_bfe_u32 v21, v9, 22, 1
	v_or_b32_sdwa v27, v27, v28 dst_sel:DWORD dst_unused:UNUSED_PAD src0_sel:WORD_0 src1_sel:DWORD
	v_add_u32_e32 v15, v15, v21
	v_cndmask_b32_e32 v10, v27, v10, vcc
	v_cndmask_b32_e32 v16, v26, v16, vcc
	;; [unrolled: 1-line block ×6, first 2 shown]
	v_cmp_ne_u32_e32 vcc, 0, v15
	v_cndmask_b32_e32 v22, 23, v17, vcc
	v_lshrrev_b32_e32 v23, 8, v17
	v_cmp_ne_u32_e32 vcc, 1, v15
	v_cndmask_b32_e32 v23, 23, v23, vcc
	v_lshlrev_b16_e32 v23, 8, v23
	v_or_b32_sdwa v22, v22, v23 dst_sel:DWORD dst_unused:UNUSED_PAD src0_sel:BYTE_0 src1_sel:DWORD
	v_lshrrev_b32_e32 v23, 24, v17
	v_cmp_ne_u32_e32 vcc, 3, v15
	v_cndmask_b32_e32 v23, 23, v23, vcc
	v_lshrrev_b32_e32 v24, 16, v17
	v_cmp_ne_u32_e32 vcc, 2, v15
	v_lshlrev_b16_e32 v23, 8, v23
	v_cndmask_b32_e32 v24, 23, v24, vcc
	v_or_b32_sdwa v23, v24, v23 dst_sel:WORD_1 dst_unused:UNUSED_PAD src0_sel:BYTE_0 src1_sel:DWORD
	v_cmp_ne_u32_e32 vcc, 4, v15
	v_or_b32_sdwa v22, v22, v23 dst_sel:DWORD dst_unused:UNUSED_PAD src0_sel:WORD_0 src1_sel:DWORD
	v_cndmask_b32_e32 v23, 23, v19, vcc
	v_lshrrev_b32_e32 v24, 8, v19
	v_cmp_ne_u32_e32 vcc, 5, v15
	v_cndmask_b32_e32 v24, 23, v24, vcc
	v_lshlrev_b16_e32 v24, 8, v24
	v_or_b32_sdwa v23, v23, v24 dst_sel:DWORD dst_unused:UNUSED_PAD src0_sel:BYTE_0 src1_sel:DWORD
	v_lshrrev_b32_e32 v24, 24, v19
	v_cmp_ne_u32_e32 vcc, 7, v15
	v_cndmask_b32_e32 v24, 23, v24, vcc
	v_lshrrev_b32_e32 v25, 16, v19
	v_cmp_ne_u32_e32 vcc, 6, v15
	v_lshlrev_b16_e32 v24, 8, v24
	v_cndmask_b32_e32 v25, 23, v25, vcc
	v_or_b32_sdwa v24, v25, v24 dst_sel:WORD_1 dst_unused:UNUSED_PAD src0_sel:BYTE_0 src1_sel:DWORD
	v_cmp_ne_u32_e32 vcc, 8, v15
	v_or_b32_sdwa v23, v23, v24 dst_sel:DWORD dst_unused:UNUSED_PAD src0_sel:WORD_0 src1_sel:DWORD
	;; [unrolled: 16-line block ×5, first 2 shown]
	v_cndmask_b32_e32 v27, 23, v10, vcc
	v_lshrrev_b32_e32 v28, 8, v10
	v_cmp_ne_u32_e32 vcc, 21, v15
	v_cndmask_b32_e32 v28, 23, v28, vcc
	v_lshlrev_b16_e32 v28, 8, v28
	v_or_b32_sdwa v27, v27, v28 dst_sel:DWORD dst_unused:UNUSED_PAD src0_sel:BYTE_0 src1_sel:DWORD
	v_lshrrev_b32_e32 v28, 24, v10
	v_cmp_ne_u32_e32 vcc, 23, v15
	v_cndmask_b32_e32 v28, 23, v28, vcc
	v_lshrrev_b32_e32 v37, 16, v10
	v_cmp_ne_u32_e32 vcc, 22, v15
	v_lshlrev_b16_e32 v28, 8, v28
	v_cndmask_b32_e32 v37, 23, v37, vcc
	v_and_b32_e32 v21, 0x800000, v9
	v_or_b32_sdwa v28, v37, v28 dst_sel:WORD_1 dst_unused:UNUSED_PAD src0_sel:BYTE_0 src1_sel:DWORD
	v_mul_f64 v[37:38], v[11:12], 0.5
	v_mul_f64 v[39:40], v[13:14], 0.5
	v_or_b32_sdwa v27, v27, v28 dst_sel:DWORD dst_unused:UNUSED_PAD src0_sel:WORD_0 src1_sel:DWORD
	v_cmp_eq_u32_e32 vcc, 0, v21
	v_cndmask_b32_e32 v42, v27, v10, vcc
	v_cndmask_b32_e32 v41, v26, v16, vcc
	v_lshrrev_b64 v[47:48], 24, v[41:42]
	v_cndmask_b32_e32 v44, v25, v18, vcc
	v_cndmask_b32_e32 v43, v24, v20, vcc
	v_lshrrev_b64 v[48:49], 24, v[43:44]
	;; [unrolled: 3-line block ×3, first 2 shown]
	v_bfe_u32 v9, v9, 23, 1
	v_add_u32_e32 v50, v15, v9
	v_mov_b32_e32 v15, 0
	v_mov_b32_e32 v13, 0
	;; [unrolled: 1-line block ×4, first 2 shown]
	v_lshrrev_b32_e32 v68, 24, v42
	v_lshrrev_b32_e32 v69, 16, v42
	;; [unrolled: 1-line block ×15, first 2 shown]
	v_mov_b32_e32 v16, 0
	v_mov_b32_e32 v14, 0
	;; [unrolled: 1-line block ×4, first 2 shown]
	v_cmp_ne_u32_e32 vcc, 0, v50
	s_and_saveexec_b64 s[8:9], vcc
	s_cbranch_execz .LBB0_287
; %bb.128:
	v_mov_b32_e32 v52, 0
	v_mov_b32_e32 v9, 0
	s_mov_b32 s12, 0
	s_mov_b32 s14, 0x55555555
	v_mov_b32_e32 v11, 0
	v_mov_b32_e32 v13, 0
	;; [unrolled: 1-line block ×3, first 2 shown]
	v_add_u32_e32 v83, 0xa0, v0
	v_mov_b32_e32 v51, v52
	v_add_u32_e32 v84, 0xa8, v0
	v_add_u32_e32 v85, 0xb0, v0
	;; [unrolled: 1-line block ×3, first 2 shown]
	v_add_u32_e32 v87, -8, v0
	v_add_u32_e32 v88, 0xa8, v0
	v_add_u32_e32 v89, 24, v0
	;; [unrolled: 1-line block ×3, first 2 shown]
	v_mov_b32_e32 v10, 0
	s_mov_b64 s[10:11], 0
	s_mov_b32 s13, 0x3fd00000
	s_mov_b32 s15, 0x3fd55555
	v_mov_b32_e32 v91, 0xd0
	v_mov_b32_e32 v92, 3
	;; [unrolled: 1-line block ×6, first 2 shown]
	s_mov_b64 s[16:17], 0
	s_branch .LBB0_130
.LBB0_129:                              ;   in Loop: Header=BB0_130 Depth=1
	s_or_b64 exec, exec, s[6:7]
	s_add_u32 s16, s16, 1
	s_addc_u32 s17, s17, 0
	v_cmp_eq_u64_e32 vcc, s[16:17], v[50:51]
	s_or_b64 s[10:11], vcc, s[10:11]
	s_andn2_b64 exec, exec, s[10:11]
	s_cbranch_execz .LBB0_286
.LBB0_130:                              ; =>This Loop Header: Depth=1
                                        ;     Child Loop BB0_189 Depth 2
                                        ;     Child Loop BB0_203 Depth 2
	;; [unrolled: 1-line block ×11, first 2 shown]
	s_cmp_eq_u32 s16, 1
	s_cselect_b64 vcc, -1, 0
	s_cmp_eq_u32 s16, 2
	v_cndmask_b32_e32 v17, v45, v80, vcc
	s_cselect_b64 vcc, -1, 0
	s_cmp_eq_u32 s16, 3
	v_cndmask_b32_e32 v17, v17, v77, vcc
	s_cselect_b64 vcc, -1, 0
	s_cmp_eq_u32 s16, 4
	v_cndmask_b32_e32 v17, v17, v49, vcc
	s_cselect_b64 vcc, -1, 0
	s_cmp_eq_u32 s16, 5
	v_cndmask_b32_e32 v17, v17, v46, vcc
	s_cselect_b64 vcc, -1, 0
	s_cmp_eq_u32 s16, 6
	v_cndmask_b32_e32 v17, v17, v79, vcc
	s_cselect_b64 vcc, -1, 0
	s_cmp_eq_u32 s16, 7
	v_cndmask_b32_e32 v17, v17, v76, vcc
	s_cselect_b64 vcc, -1, 0
	s_cmp_eq_u32 s16, 8
	v_cndmask_b32_e32 v17, v17, v73, vcc
	s_cselect_b64 vcc, -1, 0
	s_cmp_eq_u32 s16, 9
	v_cndmask_b32_e32 v17, v17, v43, vcc
	s_cselect_b64 vcc, -1, 0
	s_cmp_eq_u32 s16, 10
	v_cndmask_b32_e32 v17, v17, v81, vcc
	s_cselect_b64 vcc, -1, 0
	s_cmp_eq_u32 s16, 11
	v_cndmask_b32_e32 v17, v17, v75, vcc
	s_cselect_b64 vcc, -1, 0
	s_cmp_eq_u32 s16, 12
	v_cndmask_b32_e32 v17, v17, v48, vcc
	s_cselect_b64 vcc, -1, 0
	s_cmp_eq_u32 s16, 13
	v_cndmask_b32_e32 v17, v17, v44, vcc
	s_cselect_b64 vcc, -1, 0
	s_cmp_eq_u32 s16, 14
	v_cndmask_b32_e32 v17, v17, v78, vcc
	s_cselect_b64 vcc, -1, 0
	s_cmp_eq_u32 s16, 15
	v_cndmask_b32_e32 v17, v17, v72, vcc
	s_cselect_b64 vcc, -1, 0
	s_cmp_eq_u32 s16, 16
	v_cndmask_b32_e32 v17, v17, v70, vcc
	s_cselect_b64 vcc, -1, 0
	s_cmp_eq_u32 s16, 17
	v_cndmask_b32_e32 v17, v17, v41, vcc
	s_cselect_b64 vcc, -1, 0
	s_cmp_eq_u32 s16, 18
	v_cndmask_b32_e32 v17, v17, v82, vcc
	s_cselect_b64 vcc, -1, 0
	s_cmp_eq_u32 s16, 19
	v_cndmask_b32_e32 v17, v17, v71, vcc
	s_cselect_b64 vcc, -1, 0
	s_cmp_eq_u32 s16, 20
	v_cndmask_b32_e32 v17, v17, v47, vcc
	s_cselect_b64 vcc, -1, 0
	s_cmp_eq_u32 s16, 21
	v_cndmask_b32_e32 v17, v17, v42, vcc
	s_cselect_b64 vcc, -1, 0
	s_cmp_eq_u32 s16, 22
	v_cndmask_b32_e32 v17, v17, v74, vcc
	s_cselect_b64 vcc, -1, 0
	s_cmp_eq_u32 s16, 23
	v_cndmask_b32_e32 v17, v17, v69, vcc
	s_cselect_b64 vcc, -1, 0
	v_cndmask_b32_e32 v22, v17, v68, vcc
	v_bfe_u32 v19, v22, 2, 6
	v_cmp_lt_i32_e32 vcc, 1, v19
                                        ; implicit-def: $vgpr23
                                        ; implicit-def: $vgpr17
                                        ; implicit-def: $vgpr20
                                        ; implicit-def: $vgpr18
                                        ; implicit-def: $vgpr21
                                        ; implicit-def: $vgpr24
                                        ; implicit-def: $vgpr25
	s_and_saveexec_b64 s[6:7], vcc
	s_xor_b64 s[6:7], exec, s[6:7]
	s_cbranch_execz .LBB0_142
; %bb.131:                              ;   in Loop: Header=BB0_130 Depth=1
	v_cmp_lt_i32_e32 vcc, 2, v19
                                        ; implicit-def: $vgpr23
                                        ; implicit-def: $vgpr17
                                        ; implicit-def: $vgpr20
                                        ; implicit-def: $vgpr18
                                        ; implicit-def: $vgpr21
                                        ; implicit-def: $vgpr24
                                        ; implicit-def: $vgpr25
	s_and_saveexec_b64 s[18:19], vcc
	s_xor_b64 s[18:19], exec, s[18:19]
	s_cbranch_execz .LBB0_139
; %bb.132:                              ;   in Loop: Header=BB0_130 Depth=1
	;; [unrolled: 12-line block ×3, first 2 shown]
	v_cmp_ne_u32_e32 vcc, 4, v19
	s_and_saveexec_b64 s[22:23], vcc
	s_xor_b64 s[22:23], exec, s[22:23]
	s_or_saveexec_b64 s[22:23], s[22:23]
	v_mov_b32_e32 v19, 4
	v_mov_b32_e32 v21, 6
	v_mov_b32_e32 v20, 7
	v_mov_b32_e32 v23, 5
	v_mov_b32_e32 v17, s33
	v_mov_b32_e32 v18, s39
	v_mov_b32_e32 v24, s36
	v_mov_b32_e32 v25, s38
	s_xor_b64 exec, exec, s[22:23]
; %bb.134:                              ;   in Loop: Header=BB0_130 Depth=1
	v_mov_b32_e32 v19, 0
	v_mov_b32_e32 v21, 1
	;; [unrolled: 1-line block ×8, first 2 shown]
; %bb.135:                              ;   in Loop: Header=BB0_130 Depth=1
	s_or_b64 exec, exec, s[22:23]
.LBB0_136:                              ;   in Loop: Header=BB0_130 Depth=1
	s_andn2_saveexec_b64 s[20:21], s[20:21]
; %bb.137:                              ;   in Loop: Header=BB0_130 Depth=1
	v_mov_b32_e32 v19, 2
	v_mov_b32_e32 v21, 3
	;; [unrolled: 1-line block ×8, first 2 shown]
; %bb.138:                              ;   in Loop: Header=BB0_130 Depth=1
	s_or_b64 exec, exec, s[20:21]
.LBB0_139:                              ;   in Loop: Header=BB0_130 Depth=1
	s_andn2_saveexec_b64 s[18:19], s[18:19]
; %bb.140:                              ;   in Loop: Header=BB0_130 Depth=1
	v_mov_b32_e32 v19, 0
	v_mov_b32_e32 v21, 4
	;; [unrolled: 1-line block ×8, first 2 shown]
; %bb.141:                              ;   in Loop: Header=BB0_130 Depth=1
	s_or_b64 exec, exec, s[18:19]
.LBB0_142:                              ;   in Loop: Header=BB0_130 Depth=1
	s_andn2_saveexec_b64 s[6:7], s[6:7]
	s_cbranch_execz .LBB0_146
; %bb.143:                              ;   in Loop: Header=BB0_130 Depth=1
	v_cmp_lt_i32_e32 vcc, 0, v19
	v_mov_b32_e32 v21, 2
	v_mov_b32_e32 v20, 6
	;; [unrolled: 1-line block ×7, first 2 shown]
	s_and_saveexec_b64 s[18:19], vcc
; %bb.144:                              ;   in Loop: Header=BB0_130 Depth=1
	v_mov_b32_e32 v19, 1
	v_mov_b32_e32 v21, 5
	;; [unrolled: 1-line block ×8, first 2 shown]
; %bb.145:                              ;   in Loop: Header=BB0_130 Depth=1
	s_or_b64 exec, exec, s[18:19]
.LBB0_146:                              ;   in Loop: Header=BB0_130 Depth=1
	s_or_b64 exec, exec, s[6:7]
	buffer_load_dword v26, v25, s[0:3], 0 offen
	buffer_load_dword v27, v25, s[0:3], 0 offen offset:4
	buffer_load_dword v53, v24, s[0:3], 0 offen
	buffer_load_dword v54, v24, s[0:3], 0 offen offset:4
	v_lshl_add_u32 v28, v19, 3, v91
	v_lshl_add_u32 v67, v21, 3, v91
	buffer_load_dword v24, v28, s[0:3], 0 offen offset:64
	buffer_load_dword v25, v28, s[0:3], 0 offen offset:68
	;; [unrolled: 1-line block ×4, first 2 shown]
	buffer_load_dword v57, v18, s[0:3], 0 offen
	buffer_load_dword v58, v18, s[0:3], 0 offen offset:4
	v_lshl_add_u32 v98, v20, 3, v91
	buffer_load_dword v59, v98, s[0:3], 0 offen offset:64
	buffer_load_dword v60, v98, s[0:3], 0 offen offset:68
	;; [unrolled: 1-line block ×6, first 2 shown]
	buffer_load_dword v65, v17, s[0:3], 0 offen
	buffer_load_dword v66, v17, s[0:3], 0 offen offset:4
	v_lshl_add_u32 v28, v23, 3, v91
	buffer_load_dword v17, v28, s[0:3], 0 offen offset:64
	buffer_load_dword v18, v28, s[0:3], 0 offen offset:68
	;; [unrolled: 1-line block ×6, first 2 shown]
	s_waitcnt vmcnt(20)
	v_add_f64 v[26:27], v[26:27], v[53:54]
	s_waitcnt vmcnt(16)
	v_add_f64 v[24:25], v[24:25], v[55:56]
	;; [unrolled: 2-line block ×3, first 2 shown]
	v_add_f64 v[26:27], v[26:27], v[57:58]
	v_add_f64 v[24:25], v[24:25], v[59:60]
	s_waitcnt vmcnt(6)
	v_add_f64 v[26:27], v[26:27], v[65:66]
	s_waitcnt vmcnt(4)
	;; [unrolled: 2-line block ×3, first 2 shown]
	v_add_f64 v[24:25], v[53:54], v[96:97]
	v_fma_f64 v[26:27], v[26:27], s[12:13], -v[1:2]
	v_fma_f64 v[17:18], v[17:18], s[12:13], -v[5:6]
	s_waitcnt vmcnt(0)
	v_add_f64 v[24:25], v[24:25], v[94:95]
	v_mul_f64 v[26:27], v[33:34], v[26:27]
	v_mul_f64 v[17:18], v[31:32], v[17:18]
	v_fma_f64 v[24:25], v[24:25], s[12:13], -v[7:8]
	ds_write2_b64 v0, v[26:27], v[17:18] offset0:1 offset1:11
	ds_write_b64 v0, v[24:25] offset:168
	v_and_b32_sdwa v24, v22, v92 dst_sel:DWORD dst_unused:UNUSED_PAD src0_sel:BYTE_0 src1_sel:DWORD
	v_cmp_lt_i32_e32 vcc, 1, v24
                                        ; implicit-def: $vgpr22
	s_and_saveexec_b64 s[6:7], vcc
	s_xor_b64 s[6:7], exec, s[6:7]
	s_cbranch_execz .LBB0_152
; %bb.147:                              ;   in Loop: Header=BB0_130 Depth=1
	v_cmp_lt_i32_e32 vcc, 2, v24
	s_and_saveexec_b64 s[18:19], vcc
	s_xor_b64 s[18:19], exec, s[18:19]
; %bb.148:                              ;   in Loop: Header=BB0_130 Depth=1
                                        ; implicit-def: $vgpr20
; %bb.149:                              ;   in Loop: Header=BB0_130 Depth=1
	s_or_saveexec_b64 s[18:19], s[18:19]
	v_mov_b32_e32 v22, v23
	s_xor_b64 exec, exec, s[18:19]
; %bb.150:                              ;   in Loop: Header=BB0_130 Depth=1
	v_mov_b32_e32 v22, v20
	v_mov_b32_e32 v19, v23
; %bb.151:                              ;   in Loop: Header=BB0_130 Depth=1
	s_or_b64 exec, exec, s[18:19]
                                        ; implicit-def: $vgpr21
                                        ; implicit-def: $vgpr20
                                        ; implicit-def: $vgpr24
.LBB0_152:                              ;   in Loop: Header=BB0_130 Depth=1
	s_andn2_saveexec_b64 s[6:7], s[6:7]
	s_cbranch_execz .LBB0_156
; %bb.153:                              ;   in Loop: Header=BB0_130 Depth=1
	v_cmp_eq_u32_e32 vcc, 1, v24
	s_and_saveexec_b64 s[18:19], vcc
; %bb.154:                              ;   in Loop: Header=BB0_130 Depth=1
	v_mov_b32_e32 v19, v21
	v_mov_b32_e32 v21, v20
; %bb.155:                              ;   in Loop: Header=BB0_130 Depth=1
	s_or_b64 exec, exec, s[18:19]
	v_mov_b32_e32 v22, v19
	v_mov_b32_e32 v19, v21
.LBB0_156:                              ;   in Loop: Header=BB0_130 Depth=1
	s_or_b64 exec, exec, s[6:7]
	v_lshl_add_u32 v55, v22, 3, v91
	v_lshl_add_u32 v56, v19, 3, v91
	buffer_load_dword v19, v55, s[0:3], 0 offen
	buffer_load_dword v20, v55, s[0:3], 0 offen offset:4
	buffer_load_dword v21, v56, s[0:3], 0 offen
	buffer_load_dword v24, v55, s[0:3], 0 offen offset:68
	buffer_load_dword v25, v55, s[0:3], 0 offen offset:128
	;; [unrolled: 1-line block ×9, first 2 shown]
	s_mov_b64 s[6:7], 0
                                        ; implicit-def: $vgpr60
	s_waitcnt vmcnt(10)
	v_add_f64 v[19:20], v[19:20], -v[1:2]
	s_waitcnt vmcnt(6)
	v_add_f64 v[23:24], v[23:24], -v[5:6]
	;; [unrolled: 2-line block ×4, first 2 shown]
	v_mul_f64 v[27:28], v[33:34], v[19:20]
	v_mul_f64 v[56:57], v[31:32], v[23:24]
	;; [unrolled: 1-line block ×3, first 2 shown]
	s_waitcnt vmcnt(1)
	v_add_f64 v[23:24], v[25:26], -v[7:8]
	s_waitcnt vmcnt(0)
	v_add_f64 v[25:26], v[53:54], -v[7:8]
	v_mul_f64 v[19:20], v[31:32], v[58:59]
                                        ; implicit-def: $vgpr54_vgpr55
	ds_write2_b64 v0, v[27:28], v[21:22] offset1:2
	ds_write2_b64 v0, v[56:57], v[19:20] offset0:10 offset1:12
	ds_write2_b64 v0, v[23:24], v[25:26] offset0:20 offset1:22
	v_cmp_ngt_f64_e32 vcc, 1.0, v[56:57]
	s_and_saveexec_b64 s[18:19], vcc
	s_xor_b64 s[18:19], exec, s[18:19]
	s_cbranch_execz .LBB0_160
; %bb.157:                              ;   in Loop: Header=BB0_130 Depth=1
	v_cmp_gt_f64_e32 vcc, 1.0, v[19:20]
	v_mov_b32_e32 v60, 9
                                        ; implicit-def: $vgpr54_vgpr55
	s_and_saveexec_b64 s[20:21], vcc
	s_xor_b64 s[20:21], exec, s[20:21]
	s_cbranch_execz .LBB0_159
; %bb.158:                              ;   in Loop: Header=BB0_130 Depth=1
	v_add_f64 v[53:54], v[56:57], -v[19:20]
	v_add_f64 v[55:56], -v[19:20], 1.0
	v_add_f64 v[27:28], v[27:28], -v[21:22]
	s_mov_b64 s[6:7], exec
	v_div_scale_f64 v[57:58], s[22:23], v[53:54], v[53:54], v[55:56]
	v_rcp_f64_e32 v[59:60], v[57:58]
	v_fma_f64 v[61:62], -v[57:58], v[59:60], 1.0
	v_fma_f64 v[59:60], v[59:60], v[61:62], v[59:60]
	v_div_scale_f64 v[61:62], vcc, v[55:56], v[53:54], v[55:56]
	v_fma_f64 v[63:64], -v[57:58], v[59:60], 1.0
	v_fma_f64 v[59:60], v[59:60], v[63:64], v[59:60]
	v_mul_f64 v[63:64], v[61:62], v[59:60]
	v_fma_f64 v[57:58], -v[57:58], v[63:64], v[61:62]
	v_div_fmas_f64 v[57:58], v[57:58], v[59:60], v[63:64]
	v_mov_b32_e32 v60, 8
	v_div_fixup_f64 v[54:55], v[57:58], v[53:54], v[55:56]
	v_mov_b32_e32 v53, v93
	v_fma_f64 v[27:28], v[27:28], v[54:55], v[21:22]
	ds_write2_b64 v0, v[27:28], v[52:53] offset0:9 offset1:19
.LBB0_159:                              ;   in Loop: Header=BB0_130 Depth=1
	s_or_b64 exec, exec, s[20:21]
	s_and_b64 s[6:7], s[6:7], exec
                                        ; implicit-def: $vgpr27_vgpr28
                                        ; implicit-def: $vgpr56_vgpr57
.LBB0_160:                              ;   in Loop: Header=BB0_130 Depth=1
	s_or_saveexec_b64 s[18:19], s[18:19]
	v_mov_b32_e32 v59, v26
	v_mov_b32_e32 v61, 9
	;; [unrolled: 1-line block ×3, first 2 shown]
	s_xor_b64 exec, exec, s[18:19]
	s_cbranch_execz .LBB0_164
; %bb.161:                              ;   in Loop: Header=BB0_130 Depth=1
	v_cmp_le_f64_e32 vcc, 1.0, v[19:20]
	v_mov_b32_e32 v61, 8
	s_mov_b64 s[22:23], s[6:7]
	v_mov_b32_e32 v60, 8
	ds_write2_b64 v0, v[27:28], v[56:57] offset0:9 offset1:19
	ds_write_b64 v0, v[23:24] offset:232
                                        ; implicit-def: $vgpr54_vgpr55
	s_and_saveexec_b64 s[20:21], vcc
	s_cbranch_execz .LBB0_163
; %bb.162:                              ;   in Loop: Header=BB0_130 Depth=1
	v_add_f64 v[53:54], v[19:20], -v[56:57]
	v_add_f64 v[55:56], -v[56:57], 1.0
	v_div_scale_f64 v[57:58], s[22:23], v[53:54], v[53:54], v[55:56]
	s_or_b64 s[22:23], s[6:7], exec
	v_rcp_f64_e32 v[59:60], v[57:58]
	v_fma_f64 v[62:63], -v[57:58], v[59:60], 1.0
	v_fma_f64 v[59:60], v[59:60], v[62:63], v[59:60]
	v_div_scale_f64 v[62:63], vcc, v[55:56], v[53:54], v[55:56]
	v_fma_f64 v[64:65], -v[57:58], v[59:60], 1.0
	v_fma_f64 v[59:60], v[59:60], v[64:65], v[59:60]
	v_mul_f64 v[64:65], v[62:63], v[59:60]
	v_fma_f64 v[57:58], -v[57:58], v[64:65], v[62:63]
	v_div_fmas_f64 v[57:58], v[57:58], v[59:60], v[64:65]
	v_add_f64 v[59:60], v[21:22], -v[27:28]
	v_div_fixup_f64 v[54:55], v[57:58], v[53:54], v[55:56]
	v_mov_b32_e32 v53, v93
	v_fma_f64 v[27:28], v[59:60], v[54:55], v[27:28]
	v_mov_b32_e32 v60, 7
	ds_write2_b64 v0, v[27:28], v[52:53] offset0:8 offset1:18
.LBB0_163:                              ;   in Loop: Header=BB0_130 Depth=1
	s_or_b64 exec, exec, s[20:21]
	v_mov_b32_e32 v59, v24
	s_andn2_b64 s[6:7], s[6:7], exec
	s_and_b64 s[20:21], s[22:23], exec
	v_mov_b32_e32 v58, v23
	v_mov_b32_e32 v23, v25
	s_or_b64 s[6:7], s[6:7], s[20:21]
	v_mov_b32_e32 v24, v26
.LBB0_164:                              ;   in Loop: Header=BB0_130 Depth=1
	s_or_b64 exec, exec, s[18:19]
	s_and_saveexec_b64 s[18:19], s[6:7]
	s_cbranch_execz .LBB0_166
; %bb.165:                              ;   in Loop: Header=BB0_130 Depth=1
	v_add_f64 v[23:24], v[23:24], -v[58:59]
	v_lshl_add_u32 v25, v61, 3, v0
	v_fma_f64 v[23:24], v[54:55], v[23:24], v[58:59]
	ds_write_b64 v25, v[23:24] offset:160
.LBB0_166:                              ;   in Loop: Header=BB0_130 Depth=1
	s_or_b64 exec, exec, s[18:19]
	v_cmp_ngt_f64_e32 vcc, 1.0, v[19:20]
	s_mov_b64 s[6:7], 0
                                        ; implicit-def: $vgpr23_vgpr24
                                        ; implicit-def: $vgpr25_vgpr26
	s_and_saveexec_b64 s[18:19], vcc
	s_xor_b64 s[18:19], exec, s[18:19]
	s_cbranch_execz .LBB0_170
; %bb.167:                              ;   in Loop: Header=BB0_130 Depth=1
	v_cmp_gt_f64_e32 vcc, 1.0, v[17:18]
                                        ; implicit-def: $vgpr23_vgpr24
                                        ; implicit-def: $vgpr25_vgpr26
	s_and_saveexec_b64 s[20:21], vcc
	s_cbranch_execz .LBB0_169
; %bb.168:                              ;   in Loop: Header=BB0_130 Depth=1
	v_add_f64 v[23:24], v[19:20], -v[17:18]
	v_add_f64 v[25:26], -v[17:18], 1.0
	s_mov_b64 s[6:7], exec
	v_div_scale_f64 v[19:20], s[22:23], v[23:24], v[23:24], v[25:26]
	v_rcp_f64_e32 v[21:22], v[19:20]
	v_fma_f64 v[27:28], -v[19:20], v[21:22], 1.0
	v_fma_f64 v[21:22], v[21:22], v[27:28], v[21:22]
	v_div_scale_f64 v[27:28], vcc, v[25:26], v[23:24], v[25:26]
	v_fma_f64 v[53:54], -v[19:20], v[21:22], 1.0
	v_fma_f64 v[21:22], v[21:22], v[53:54], v[21:22]
	v_mul_f64 v[53:54], v[27:28], v[21:22]
	v_fma_f64 v[19:20], -v[19:20], v[53:54], v[27:28]
	v_div_fmas_f64 v[27:28], v[19:20], v[21:22], v[53:54]
	ds_read2_b64 v[19:22], v0 offset0:1 offset1:2
	v_mov_b32_e32 v53, v93
	s_waitcnt lgkmcnt(0)
	v_add_f64 v[21:22], v[21:22], -v[19:20]
	v_div_fixup_f64 v[23:24], v[27:28], v[23:24], v[25:26]
	v_fma_f64 v[25:26], v[23:24], v[21:22], v[19:20]
	v_lshl_add_u32 v19, v60, 3, v0
	ds_write_b64 v19, v[52:53] offset:80
.LBB0_169:                              ;   in Loop: Header=BB0_130 Depth=1
	s_or_b64 exec, exec, s[20:21]
	s_and_b64 s[6:7], s[6:7], exec
                                        ; implicit-def: $vgpr21_vgpr22
                                        ; implicit-def: $vgpr19_vgpr20
.LBB0_170:                              ;   in Loop: Header=BB0_130 Depth=1
	s_or_saveexec_b64 s[18:19], s[18:19]
	v_mov_b32_e32 v53, 2
	v_mov_b32_e32 v28, -1
	v_mov_b32_e32 v54, v84
	v_mov_b32_e32 v27, v60
	s_xor_b64 exec, exec, s[18:19]
	s_cbranch_execz .LBB0_174
; %bb.171:                              ;   in Loop: Header=BB0_130 Depth=1
	v_lshl_add_u32 v27, v60, 3, v0
	ds_write2_b64 v27, v[21:22], v[19:20] offset1:10
	ds_read2_b64 v[17:20], v0 offset0:11 offset1:22
	s_mov_b64 s[22:23], s[6:7]
                                        ; implicit-def: $vgpr23_vgpr24
                                        ; implicit-def: $vgpr25_vgpr26
	s_waitcnt lgkmcnt(0)
	v_cmp_le_f64_e32 vcc, 1.0, v[17:18]
	ds_write_b64 v27, v[19:20] offset:160
	s_and_saveexec_b64 s[20:21], vcc
	s_cbranch_execz .LBB0_173
; %bb.172:                              ;   in Loop: Header=BB0_130 Depth=1
	ds_read_b64 v[23:24], v0 offset:96
	ds_read2_b64 v[19:22], v0 offset0:1 offset1:2
	s_waitcnt lgkmcnt(1)
	v_add_f64 v[25:26], v[17:18], -v[23:24]
	v_add_f64 v[23:24], -v[23:24], 1.0
	s_waitcnt lgkmcnt(0)
	v_add_f64 v[19:20], v[19:20], -v[21:22]
	v_div_scale_f64 v[53:54], s[22:23], v[25:26], v[25:26], v[23:24]
	s_or_b64 s[22:23], s[6:7], exec
	v_rcp_f64_e32 v[55:56], v[53:54]
	v_fma_f64 v[57:58], -v[53:54], v[55:56], 1.0
	v_fma_f64 v[55:56], v[55:56], v[57:58], v[55:56]
	v_div_scale_f64 v[57:58], vcc, v[23:24], v[25:26], v[23:24]
	v_fma_f64 v[61:62], -v[53:54], v[55:56], 1.0
	v_fma_f64 v[55:56], v[55:56], v[61:62], v[55:56]
	v_mul_f64 v[61:62], v[57:58], v[55:56]
	v_fma_f64 v[53:54], -v[53:54], v[61:62], v[57:58]
	v_div_fmas_f64 v[53:54], v[53:54], v[55:56], v[61:62]
	v_div_fixup_f64 v[23:24], v[53:54], v[25:26], v[23:24]
	v_mov_b32_e32 v53, v93
	ds_write_b64 v27, v[52:53] offset:72
	v_fma_f64 v[25:26], v[23:24], v[19:20], v[21:22]
.LBB0_173:                              ;   in Loop: Header=BB0_130 Depth=1
	s_or_b64 exec, exec, s[20:21]
	s_andn2_b64 s[6:7], s[6:7], exec
	s_and_b64 s[20:21], s[22:23], exec
	v_add_u32_e32 v27, -1, v60
	v_mov_b32_e32 v53, 1
	v_mov_b32_e32 v28, -2
	s_or_b64 s[6:7], s[6:7], s[20:21]
	v_mov_b32_e32 v54, v85
.LBB0_174:                              ;   in Loop: Header=BB0_130 Depth=1
	s_or_b64 exec, exec, s[18:19]
	s_and_saveexec_b64 s[18:19], s[6:7]
	s_cbranch_execz .LBB0_176
; %bb.175:                              ;   in Loop: Header=BB0_130 Depth=1
	v_lshl_add_u32 v27, v27, 3, v0
	ds_write_b64 v27, v[25:26]
	ds_read_b64 v[19:20], v54
	v_lshl_add_u32 v17, v53, 3, v0
	ds_read_b64 v[21:22], v17 offset:160
	ds_read_b64 v[17:18], v0 offset:88
	s_waitcnt lgkmcnt(1)
	v_add_f64 v[21:22], v[21:22], -v[19:20]
	v_fma_f64 v[19:20], v[23:24], v[21:22], v[19:20]
	ds_write_b64 v27, v[19:20] offset:160
	v_add_u32_e32 v27, v28, v60
.LBB0_176:                              ;   in Loop: Header=BB0_130 Depth=1
	s_or_b64 exec, exec, s[18:19]
	s_waitcnt lgkmcnt(1)
	v_cmp_ngt_f64_e32 vcc, 1.0, v[17:18]
	s_mov_b64 s[6:7], 0
                                        ; implicit-def: $vgpr19_vgpr20
                                        ; implicit-def: $vgpr21_vgpr22
	s_and_saveexec_b64 s[18:19], vcc
	s_xor_b64 s[18:19], exec, s[18:19]
	s_cbranch_execz .LBB0_180
; %bb.177:                              ;   in Loop: Header=BB0_130 Depth=1
	ds_read_b64 v[23:24], v0 offset:80
                                        ; implicit-def: $vgpr19_vgpr20
                                        ; implicit-def: $vgpr21_vgpr22
	s_waitcnt lgkmcnt(0)
	v_cmp_gt_f64_e32 vcc, 1.0, v[23:24]
	s_and_saveexec_b64 s[20:21], vcc
	s_cbranch_execz .LBB0_179
; %bb.178:                              ;   in Loop: Header=BB0_130 Depth=1
	v_add_f64 v[17:18], v[17:18], -v[23:24]
	v_add_f64 v[19:20], -v[23:24], 1.0
	s_mov_b64 s[6:7], exec
	v_div_scale_f64 v[21:22], s[22:23], v[17:18], v[17:18], v[19:20]
	v_rcp_f64_e32 v[23:24], v[21:22]
	v_fma_f64 v[25:26], -v[21:22], v[23:24], 1.0
	v_fma_f64 v[23:24], v[23:24], v[25:26], v[23:24]
	v_div_scale_f64 v[25:26], vcc, v[19:20], v[17:18], v[19:20]
	v_fma_f64 v[53:54], -v[21:22], v[23:24], 1.0
	v_fma_f64 v[23:24], v[23:24], v[53:54], v[23:24]
	v_mul_f64 v[53:54], v[25:26], v[23:24]
	v_fma_f64 v[21:22], -v[21:22], v[53:54], v[25:26]
	v_div_fmas_f64 v[25:26], v[21:22], v[23:24], v[53:54]
	ds_read2_b64 v[21:24], v0 offset1:1
	v_mov_b32_e32 v53, v93
	v_div_fixup_f64 v[19:20], v[25:26], v[17:18], v[19:20]
	s_waitcnt lgkmcnt(0)
	v_add_f64 v[17:18], v[23:24], -v[21:22]
	v_fma_f64 v[21:22], v[19:20], v[17:18], v[21:22]
	v_lshl_add_u32 v17, v27, 3, v0
	ds_write_b64 v17, v[52:53] offset:80
.LBB0_179:                              ;   in Loop: Header=BB0_130 Depth=1
	s_or_b64 exec, exec, s[20:21]
	s_and_b64 s[6:7], s[6:7], exec
                                        ; implicit-def: $vgpr17_vgpr18
.LBB0_180:                              ;   in Loop: Header=BB0_130 Depth=1
	s_or_saveexec_b64 s[18:19], s[18:19]
	v_mov_b32_e32 v25, 1
	v_mov_b32_e32 v24, -1
	v_mov_b32_e32 v26, v83
	v_mov_b32_e32 v23, v27
	s_xor_b64 exec, exec, s[18:19]
	s_cbranch_execz .LBB0_184
; %bb.181:                              ;   in Loop: Header=BB0_130 Depth=1
	ds_read_b64 v[19:20], v0 offset:8
	v_lshl_add_u32 v23, v27, 3, v0
	s_mov_b64 s[22:23], s[6:7]
                                        ; implicit-def: $vgpr21_vgpr22
	s_waitcnt lgkmcnt(0)
	ds_write2_b64 v23, v[19:20], v[17:18] offset1:10
	ds_read2_b64 v[17:20], v0 offset0:10 offset1:21
	s_waitcnt lgkmcnt(0)
	v_cmp_le_f64_e32 vcc, 1.0, v[17:18]
	ds_write_b64 v23, v[19:20] offset:160
                                        ; implicit-def: $vgpr19_vgpr20
	s_and_saveexec_b64 s[20:21], vcc
	s_cbranch_execz .LBB0_183
; %bb.182:                              ;   in Loop: Header=BB0_130 Depth=1
	ds_read_b64 v[19:20], v0 offset:88
	ds_read2_b64 v[53:56], v0 offset1:1
	s_waitcnt lgkmcnt(1)
	v_add_f64 v[17:18], v[17:18], -v[19:20]
	v_add_f64 v[19:20], -v[19:20], 1.0
	v_div_scale_f64 v[21:22], s[22:23], v[17:18], v[17:18], v[19:20]
	s_or_b64 s[22:23], s[6:7], exec
	v_rcp_f64_e32 v[24:25], v[21:22]
	v_fma_f64 v[57:58], -v[21:22], v[24:25], 1.0
	v_fma_f64 v[24:25], v[24:25], v[57:58], v[24:25]
	v_div_scale_f64 v[57:58], vcc, v[19:20], v[17:18], v[19:20]
	v_fma_f64 v[59:60], -v[21:22], v[24:25], 1.0
	v_fma_f64 v[24:25], v[24:25], v[59:60], v[24:25]
	v_mul_f64 v[59:60], v[57:58], v[24:25]
	v_fma_f64 v[21:22], -v[21:22], v[59:60], v[57:58]
	v_div_fmas_f64 v[21:22], v[21:22], v[24:25], v[59:60]
	v_div_fixup_f64 v[19:20], v[21:22], v[17:18], v[19:20]
	s_waitcnt lgkmcnt(0)
	v_add_f64 v[17:18], v[53:54], -v[55:56]
	v_mov_b32_e32 v53, v93
	ds_write_b64 v23, v[52:53] offset:72
	v_fma_f64 v[21:22], v[19:20], v[17:18], v[55:56]
.LBB0_183:                              ;   in Loop: Header=BB0_130 Depth=1
	s_or_b64 exec, exec, s[20:21]
	s_andn2_b64 s[6:7], s[6:7], exec
	s_and_b64 s[20:21], s[22:23], exec
	v_add_u32_e32 v23, -1, v27
	v_mov_b32_e32 v25, 0
	v_mov_b32_e32 v24, -2
	s_or_b64 s[6:7], s[6:7], s[20:21]
	v_mov_b32_e32 v26, v84
.LBB0_184:                              ;   in Loop: Header=BB0_130 Depth=1
	s_or_b64 exec, exec, s[18:19]
	s_and_saveexec_b64 s[18:19], s[6:7]
	s_cbranch_execz .LBB0_186
; %bb.185:                              ;   in Loop: Header=BB0_130 Depth=1
	v_lshl_add_u32 v23, v23, 3, v0
	ds_write_b64 v23, v[21:22]
	v_lshl_add_u32 v21, v25, 3, v0
	ds_read_b64 v[17:18], v26
	ds_read_b64 v[21:22], v21 offset:160
	s_waitcnt lgkmcnt(0)
	v_add_f64 v[21:22], v[21:22], -v[17:18]
	v_fma_f64 v[17:18], v[19:20], v[21:22], v[17:18]
	ds_write_b64 v23, v[17:18] offset:160
	v_add_u32_e32 v23, v24, v27
.LBB0_186:                              ;   in Loop: Header=BB0_130 Depth=1
	s_or_b64 exec, exec, s[18:19]
	v_add_u32_e32 v17, 1, v23
	v_cmp_ne_u32_e32 vcc, 10, v17
	v_mov_b32_e32 v27, 0
	s_and_saveexec_b64 s[6:7], vcc
	s_cbranch_execz .LBB0_200
; %bb.187:                              ;   in Loop: Header=BB0_130 Depth=1
	v_add_co_u32_e32 v19, vcc, -9, v23
	v_addc_co_u32_e64 v20, s[18:19], 0, -1, vcc
	v_mov_b32_e32 v18, v52
	v_lshl_add_u32 v28, v23, 3, v86
	v_mov_b32_e32 v27, 0
	v_mov_b32_e32 v21, 9
	s_mov_b64 s[18:19], 0
	v_mov_b32_e32 v22, 0
	s_branch .LBB0_189
.LBB0_188:                              ;   in Loop: Header=BB0_189 Depth=2
	s_or_b64 exec, exec, s[22:23]
	v_add_co_u32_e32 v23, vcc, 1, v17
	v_addc_co_u32_e32 v24, vcc, 0, v18, vcc
	v_add_co_u32_e32 v19, vcc, 1, v19
	v_addc_co_u32_e32 v20, vcc, 0, v20, vcc
	v_cmp_eq_u64_e32 vcc, 0, v[19:20]
	v_mov_b32_e32 v22, v18
	v_mov_b32_e32 v21, v17
	;; [unrolled: 1-line block ×3, first 2 shown]
	v_add_u32_e32 v28, 8, v28
	s_or_b64 s[18:19], vcc, s[18:19]
	v_mov_b32_e32 v18, v24
	s_andn2_b64 exec, exec, s[18:19]
	s_cbranch_execz .LBB0_199
.LBB0_189:                              ;   Parent Loop BB0_130 Depth=1
                                        ; =>  This Inner Loop Header: Depth=2
	v_lshl_add_u32 v54, v21, 3, v0
	ds_read_b64 v[23:24], v54 offset:80
	s_mov_b64 s[20:21], 0
                                        ; implicit-def: $vgpr21_vgpr22
	s_waitcnt lgkmcnt(0)
	v_cmp_le_f64_e32 vcc, 0, v[23:24]
	s_and_saveexec_b64 s[22:23], vcc
	s_xor_b64 s[22:23], exec, s[22:23]
	s_cbranch_execnz .LBB0_192
; %bb.190:                              ;   in Loop: Header=BB0_189 Depth=2
	s_andn2_saveexec_b64 s[22:23], s[22:23]
	s_cbranch_execnz .LBB0_195
.LBB0_191:                              ;   in Loop: Header=BB0_189 Depth=2
	s_or_b64 exec, exec, s[22:23]
	s_and_saveexec_b64 s[22:23], s[20:21]
	s_cbranch_execz .LBB0_188
	s_branch .LBB0_198
.LBB0_192:                              ;   in Loop: Header=BB0_189 Depth=2
	v_lshl_add_u32 v25, v27, 3, v0
	ds_write_b64 v25, v[23:24] offset:80
	ds_read_b64 v[21:22], v54
	s_waitcnt lgkmcnt(0)
	ds_write_b64 v25, v[21:22]
	ds_read_b64 v[21:22], v54 offset:160
	s_waitcnt lgkmcnt(0)
	ds_write_b64 v25, v[21:22] offset:160
	ds_read_b64 v[23:24], v28 offset:80
                                        ; implicit-def: $vgpr21_vgpr22
	s_waitcnt lgkmcnt(0)
	v_cmp_gt_f64_e32 vcc, 0, v[23:24]
	s_and_saveexec_b64 s[24:25], vcc
	s_cbranch_execz .LBB0_194
; %bb.193:                              ;   in Loop: Header=BB0_189 Depth=2
	ds_read_b64 v[21:22], v54 offset:80
	v_add_f64 v[55:56], -v[23:24], 0
	v_mov_b32_e32 v53, v52
	ds_write_b64 v25, v[52:53] offset:88
	s_mov_b64 s[20:21], exec
	s_waitcnt lgkmcnt(1)
	v_add_f64 v[21:22], v[21:22], -v[23:24]
	v_div_scale_f64 v[23:24], s[26:27], v[21:22], v[21:22], v[55:56]
	v_rcp_f64_e32 v[57:58], v[23:24]
	v_fma_f64 v[59:60], -v[23:24], v[57:58], 1.0
	v_fma_f64 v[57:58], v[57:58], v[59:60], v[57:58]
	v_div_scale_f64 v[59:60], vcc, v[55:56], v[21:22], v[55:56]
	v_fma_f64 v[61:62], -v[23:24], v[57:58], 1.0
	v_fma_f64 v[57:58], v[57:58], v[61:62], v[57:58]
	v_mul_f64 v[61:62], v[59:60], v[57:58]
	v_fma_f64 v[23:24], -v[23:24], v[61:62], v[59:60]
	v_div_fmas_f64 v[23:24], v[23:24], v[57:58], v[61:62]
	ds_read_b64 v[57:58], v28
	ds_read_b64 v[59:60], v54
	s_waitcnt lgkmcnt(0)
	v_add_f64 v[59:60], v[59:60], -v[57:58]
	v_div_fixup_f64 v[21:22], v[23:24], v[21:22], v[55:56]
	v_fma_f64 v[23:24], v[21:22], v[59:60], v[57:58]
	ds_write_b64 v25, v[23:24] offset:8
	ds_read_b64 v[23:24], v28 offset:160
	ds_read_b64 v[25:26], v54 offset:160
	s_waitcnt lgkmcnt(0)
	v_add_f64 v[25:26], v[25:26], -v[23:24]
	v_fma_f64 v[21:22], v[21:22], v[25:26], v[23:24]
.LBB0_194:                              ;   in Loop: Header=BB0_189 Depth=2
	s_or_b64 exec, exec, s[24:25]
	v_add_u32_e32 v27, 1, v27
	s_and_b64 s[20:21], s[20:21], exec
                                        ; implicit-def: $vgpr23_vgpr24
                                        ; implicit-def: $vgpr54
	s_andn2_saveexec_b64 s[22:23], s[22:23]
	s_cbranch_execz .LBB0_191
.LBB0_195:                              ;   in Loop: Header=BB0_189 Depth=2
	ds_read_b64 v[25:26], v28 offset:80
	s_mov_b64 s[26:27], s[20:21]
                                        ; implicit-def: $vgpr21_vgpr22
	s_waitcnt lgkmcnt(0)
	v_cmp_le_f64_e32 vcc, 0, v[25:26]
	s_and_saveexec_b64 s[24:25], vcc
	s_cbranch_execz .LBB0_197
; %bb.196:                              ;   in Loop: Header=BB0_189 Depth=2
	v_add_f64 v[21:22], v[25:26], -v[23:24]
	v_add_f64 v[23:24], -v[23:24], 0
	v_mov_b32_e32 v53, v52
	v_div_scale_f64 v[25:26], s[26:27], v[21:22], v[21:22], v[23:24]
	s_or_b64 s[26:27], s[20:21], exec
	v_rcp_f64_e32 v[55:56], v[25:26]
	v_fma_f64 v[57:58], -v[25:26], v[55:56], 1.0
	v_fma_f64 v[55:56], v[55:56], v[57:58], v[55:56]
	v_div_scale_f64 v[57:58], vcc, v[23:24], v[21:22], v[23:24]
	v_fma_f64 v[59:60], -v[25:26], v[55:56], 1.0
	v_fma_f64 v[55:56], v[55:56], v[59:60], v[55:56]
	v_mul_f64 v[59:60], v[57:58], v[55:56]
	v_fma_f64 v[25:26], -v[25:26], v[59:60], v[57:58]
	v_div_fmas_f64 v[25:26], v[25:26], v[55:56], v[59:60]
	v_lshl_add_u32 v59, v27, 3, v0
	ds_write_b64 v59, v[52:53] offset:80
	ds_read_b64 v[55:56], v54
	ds_read_b64 v[57:58], v28
	s_waitcnt lgkmcnt(0)
	v_add_f64 v[57:58], v[57:58], -v[55:56]
	v_div_fixup_f64 v[21:22], v[25:26], v[21:22], v[23:24]
	v_fma_f64 v[23:24], v[21:22], v[57:58], v[55:56]
	ds_write_b64 v59, v[23:24]
	ds_read_b64 v[23:24], v54 offset:160
	ds_read_b64 v[25:26], v28 offset:160
	s_waitcnt lgkmcnt(0)
	v_add_f64 v[25:26], v[25:26], -v[23:24]
	v_fma_f64 v[21:22], v[21:22], v[25:26], v[23:24]
.LBB0_197:                              ;   in Loop: Header=BB0_189 Depth=2
	s_or_b64 exec, exec, s[24:25]
	s_andn2_b64 s[20:21], s[20:21], exec
	s_and_b64 s[24:25], s[26:27], exec
	s_or_b64 s[20:21], s[20:21], s[24:25]
	s_or_b64 exec, exec, s[22:23]
	s_and_saveexec_b64 s[22:23], s[20:21]
	s_cbranch_execz .LBB0_188
.LBB0_198:                              ;   in Loop: Header=BB0_189 Depth=2
	v_lshl_add_u32 v23, v27, 3, v0
	v_add_u32_e32 v27, 1, v27
	ds_write_b64 v23, v[21:22] offset:160
	s_branch .LBB0_188
.LBB0_199:                              ;   in Loop: Header=BB0_130 Depth=1
	s_or_b64 exec, exec, s[18:19]
.LBB0_200:                              ;   in Loop: Header=BB0_130 Depth=1
	s_or_b64 exec, exec, s[6:7]
	v_mov_b32_e32 v17, 10
	v_mov_b32_e32 v18, 0
	v_cmp_ne_u32_e32 vcc, 0, v27
	s_and_saveexec_b64 s[6:7], vcc
	s_cbranch_execz .LBB0_214
; %bb.201:                              ;   in Loop: Header=BB0_130 Depth=1
	v_add_u32_e32 v17, -1, v27
	v_ashrrev_i32_e32 v18, 31, v17
	v_add_co_u32_e32 v19, vcc, 1, v17
	v_addc_co_u32_e32 v20, vcc, 0, v18, vcc
	v_lshl_add_u32 v28, v27, 3, v87
	v_mov_b32_e32 v54, 9
	v_mov_b32_e32 v21, 0
	s_mov_b64 s[18:19], 0
	v_mov_b32_e32 v22, 0
	s_branch .LBB0_203
.LBB0_202:                              ;   in Loop: Header=BB0_203 Depth=2
	s_or_b64 exec, exec, s[22:23]
	v_add_co_u32_e32 v23, vcc, -1, v17
	v_addc_co_u32_e32 v24, vcc, -1, v18, vcc
	v_add_co_u32_e32 v19, vcc, -1, v19
	v_addc_co_u32_e32 v20, vcc, -1, v20, vcc
	v_cmp_eq_u64_e32 vcc, 0, v[19:20]
	v_mov_b32_e32 v22, v18
	v_mov_b32_e32 v21, v17
	;; [unrolled: 1-line block ×3, first 2 shown]
	v_add_u32_e32 v28, -8, v28
	s_or_b64 s[18:19], vcc, s[18:19]
	v_mov_b32_e32 v54, v26
	v_mov_b32_e32 v18, v24
	s_andn2_b64 exec, exec, s[18:19]
	s_cbranch_execz .LBB0_213
.LBB0_203:                              ;   Parent Loop BB0_130 Depth=1
                                        ; =>  This Inner Loop Header: Depth=2
	v_lshl_add_u32 v55, v21, 3, v0
	ds_read_b64 v[24:25], v55
	s_mov_b64 s[20:21], 0
                                        ; implicit-def: $vgpr22_vgpr23
                                        ; implicit-def: $vgpr53
	s_waitcnt lgkmcnt(0)
	v_cmp_ngt_f64_e32 vcc, 1.0, v[24:25]
	s_and_saveexec_b64 s[22:23], vcc
	s_xor_b64 s[22:23], exec, s[22:23]
	s_cbranch_execz .LBB0_207
; %bb.204:                              ;   in Loop: Header=BB0_203 Depth=2
	ds_read_b64 v[26:27], v28
                                        ; implicit-def: $vgpr22_vgpr23
                                        ; implicit-def: $vgpr53
	s_waitcnt lgkmcnt(0)
	v_cmp_gt_f64_e32 vcc, 1.0, v[26:27]
	s_and_saveexec_b64 s[24:25], vcc
	s_xor_b64 s[24:25], exec, s[24:25]
	s_cbranch_execz .LBB0_206
; %bb.205:                              ;   in Loop: Header=BB0_203 Depth=2
	v_add_f64 v[22:23], v[24:25], -v[26:27]
	v_add_f64 v[24:25], -v[26:27], 1.0
	v_mov_b32_e32 v53, v93
	s_mov_b64 s[20:21], exec
	v_div_scale_f64 v[26:27], s[26:27], v[22:23], v[22:23], v[24:25]
	v_rcp_f64_e32 v[56:57], v[26:27]
	v_fma_f64 v[58:59], -v[26:27], v[56:57], 1.0
	v_fma_f64 v[56:57], v[56:57], v[58:59], v[56:57]
	v_div_scale_f64 v[58:59], vcc, v[24:25], v[22:23], v[24:25]
	v_fma_f64 v[60:61], -v[26:27], v[56:57], 1.0
	v_fma_f64 v[56:57], v[56:57], v[60:61], v[56:57]
	v_mul_f64 v[60:61], v[58:59], v[56:57]
	v_fma_f64 v[26:27], -v[26:27], v[60:61], v[58:59]
	v_div_fmas_f64 v[26:27], v[26:27], v[56:57], v[60:61]
	v_lshl_add_u32 v60, v54, 3, v0
	ds_write_b64 v60, v[52:53]
	ds_read_b64 v[56:57], v28 offset:80
	ds_read_b64 v[58:59], v55 offset:80
	v_add_u32_e32 v53, 0xa0, v28
	s_waitcnt lgkmcnt(0)
	v_add_f64 v[58:59], v[58:59], -v[56:57]
	v_div_fixup_f64 v[22:23], v[26:27], v[22:23], v[24:25]
	v_fma_f64 v[24:25], v[22:23], v[58:59], v[56:57]
	ds_write_b64 v60, v[24:25] offset:80
.LBB0_206:                              ;   in Loop: Header=BB0_203 Depth=2
	s_or_b64 exec, exec, s[24:25]
	s_and_b64 s[20:21], s[20:21], exec
                                        ; implicit-def: $vgpr55
                                        ; implicit-def: $vgpr24_vgpr25
.LBB0_207:                              ;   in Loop: Header=BB0_203 Depth=2
	s_or_saveexec_b64 s[22:23], s[22:23]
	v_mov_b32_e32 v27, -1
	v_mov_b32_e32 v26, v54
	s_xor_b64 exec, exec, s[22:23]
	s_cbranch_execz .LBB0_211
; %bb.208:                              ;   in Loop: Header=BB0_203 Depth=2
	v_lshl_add_u32 v26, v54, 3, v0
	ds_write_b64 v26, v[24:25]
	ds_read_b64 v[21:22], v55 offset:80
	s_mov_b64 s[26:27], s[20:21]
	s_waitcnt lgkmcnt(0)
	ds_write_b64 v26, v[21:22] offset:80
	ds_read_b64 v[21:22], v55 offset:160
	s_waitcnt lgkmcnt(0)
	ds_write_b64 v26, v[21:22] offset:160
	ds_read_b64 v[24:25], v28
                                        ; implicit-def: $vgpr22_vgpr23
                                        ; implicit-def: $vgpr21
	s_waitcnt lgkmcnt(0)
	v_cmp_le_f64_e32 vcc, 1.0, v[24:25]
	s_and_saveexec_b64 s[24:25], vcc
	s_cbranch_execz .LBB0_210
; %bb.209:                              ;   in Loop: Header=BB0_203 Depth=2
	ds_read_b64 v[21:22], v55
	v_mov_b32_e32 v53, v93
	s_waitcnt lgkmcnt(0)
	v_add_f64 v[23:24], v[24:25], -v[21:22]
	v_add_f64 v[21:22], -v[21:22], 1.0
	v_add_u32_e32 v25, -8, v26
	ds_write_b64 v25, v[52:53]
	v_div_scale_f64 v[56:57], s[26:27], v[23:24], v[23:24], v[21:22]
	s_or_b64 s[26:27], s[20:21], exec
	v_rcp_f64_e32 v[58:59], v[56:57]
	v_fma_f64 v[60:61], -v[56:57], v[58:59], 1.0
	v_fma_f64 v[58:59], v[58:59], v[60:61], v[58:59]
	v_div_scale_f64 v[60:61], vcc, v[21:22], v[23:24], v[21:22]
	v_fma_f64 v[62:63], -v[56:57], v[58:59], 1.0
	v_fma_f64 v[58:59], v[58:59], v[62:63], v[58:59]
	v_mul_f64 v[62:63], v[60:61], v[58:59]
	v_fma_f64 v[56:57], -v[56:57], v[62:63], v[60:61]
	v_div_fmas_f64 v[56:57], v[56:57], v[58:59], v[62:63]
	ds_read_b64 v[58:59], v55 offset:80
	ds_read_b64 v[60:61], v28 offset:80
	s_waitcnt lgkmcnt(0)
	v_add_f64 v[60:61], v[60:61], -v[58:59]
	v_div_fixup_f64 v[22:23], v[56:57], v[23:24], v[21:22]
	v_mov_b32_e32 v21, v17
	v_fma_f64 v[24:25], v[22:23], v[60:61], v[58:59]
	ds_write_b64 v26, v[24:25] offset:72
.LBB0_210:                              ;   in Loop: Header=BB0_203 Depth=2
	s_or_b64 exec, exec, s[24:25]
	s_andn2_b64 s[20:21], s[20:21], exec
	s_and_b64 s[24:25], s[26:27], exec
	v_add_u32_e32 v53, 0xa0, v55
	v_add_u32_e32 v26, -1, v54
	v_mov_b32_e32 v27, -2
	s_or_b64 s[20:21], s[20:21], s[24:25]
.LBB0_211:                              ;   in Loop: Header=BB0_203 Depth=2
	s_or_b64 exec, exec, s[22:23]
	s_and_saveexec_b64 s[22:23], s[20:21]
	s_cbranch_execz .LBB0_202
; %bb.212:                              ;   in Loop: Header=BB0_203 Depth=2
	v_lshl_add_u32 v21, v21, 3, v0
	ds_read_b64 v[24:25], v53
	ds_read_b64 v[55:56], v21 offset:160
	s_waitcnt lgkmcnt(0)
	v_add_f64 v[55:56], v[55:56], -v[24:25]
	v_fma_f64 v[21:22], v[22:23], v[55:56], v[24:25]
	v_lshl_add_u32 v23, v26, 3, v0
	v_add_u32_e32 v26, v27, v54
	ds_write_b64 v23, v[21:22] offset:160
	s_branch .LBB0_202
.LBB0_213:                              ;   in Loop: Header=BB0_130 Depth=1
	s_or_b64 exec, exec, s[18:19]
	v_add_u32_e32 v17, 1, v26
	v_ashrrev_i32_e32 v18, 31, v17
.LBB0_214:                              ;   in Loop: Header=BB0_130 Depth=1
	s_or_b64 exec, exec, s[6:7]
	v_cmp_ne_u64_e32 vcc, 10, v[17:18]
	v_mov_b32_e32 v54, 0
	s_and_saveexec_b64 s[6:7], vcc
	s_cbranch_execz .LBB0_228
; %bb.215:                              ;   in Loop: Header=BB0_130 Depth=1
	v_add_co_u32_e32 v19, vcc, -10, v17
	v_lshl_add_u32 v27, v17, 3, v0
	v_addc_co_u32_e32 v20, vcc, -1, v18, vcc
	v_mov_b32_e32 v54, 0
	v_mov_b32_e32 v21, 9
	s_mov_b64 s[18:19], 0
	v_mov_b32_e32 v22, 0
	s_branch .LBB0_217
.LBB0_216:                              ;   in Loop: Header=BB0_217 Depth=2
	s_or_b64 exec, exec, s[22:23]
	v_add_co_u32_e32 v23, vcc, 1, v17
	v_addc_co_u32_e32 v24, vcc, 0, v18, vcc
	v_add_co_u32_e32 v19, vcc, 1, v19
	v_addc_co_u32_e32 v20, vcc, 0, v20, vcc
	v_cmp_eq_u64_e32 vcc, 0, v[19:20]
	v_mov_b32_e32 v22, v18
	v_mov_b32_e32 v21, v17
	;; [unrolled: 1-line block ×3, first 2 shown]
	v_add_u32_e32 v27, 8, v27
	s_or_b64 s[18:19], vcc, s[18:19]
	v_mov_b32_e32 v18, v24
	s_andn2_b64 exec, exec, s[18:19]
	s_cbranch_execz .LBB0_227
.LBB0_217:                              ;   Parent Loop BB0_130 Depth=1
                                        ; =>  This Inner Loop Header: Depth=2
	v_lshl_add_u32 v28, v21, 3, v0
	ds_read_b64 v[23:24], v28
	s_mov_b64 s[20:21], 0
                                        ; implicit-def: $vgpr21_vgpr22
	s_waitcnt lgkmcnt(0)
	v_cmp_le_f64_e32 vcc, 0, v[23:24]
	s_and_saveexec_b64 s[22:23], vcc
	s_xor_b64 s[22:23], exec, s[22:23]
	s_cbranch_execnz .LBB0_220
; %bb.218:                              ;   in Loop: Header=BB0_217 Depth=2
	s_andn2_saveexec_b64 s[22:23], s[22:23]
	s_cbranch_execnz .LBB0_223
.LBB0_219:                              ;   in Loop: Header=BB0_217 Depth=2
	s_or_b64 exec, exec, s[22:23]
	s_and_saveexec_b64 s[22:23], s[20:21]
	s_cbranch_execz .LBB0_216
	s_branch .LBB0_226
.LBB0_220:                              ;   in Loop: Header=BB0_217 Depth=2
	v_lshl_add_u32 v25, v54, 3, v0
	ds_write_b64 v25, v[23:24]
	ds_read_b64 v[21:22], v28 offset:80
	s_waitcnt lgkmcnt(0)
	ds_write_b64 v25, v[21:22] offset:80
	ds_read_b64 v[21:22], v28 offset:160
	s_waitcnt lgkmcnt(0)
	ds_write_b64 v25, v[21:22] offset:160
	ds_read_b64 v[23:24], v27
                                        ; implicit-def: $vgpr21_vgpr22
	s_waitcnt lgkmcnt(0)
	v_cmp_gt_f64_e32 vcc, 0, v[23:24]
	s_and_saveexec_b64 s[24:25], vcc
	s_cbranch_execz .LBB0_222
; %bb.221:                              ;   in Loop: Header=BB0_217 Depth=2
	ds_read_b64 v[21:22], v28
	v_add_f64 v[55:56], -v[23:24], 0
	v_mov_b32_e32 v53, v52
	ds_write_b64 v25, v[52:53] offset:8
	s_mov_b64 s[20:21], exec
	s_waitcnt lgkmcnt(1)
	v_add_f64 v[21:22], v[21:22], -v[23:24]
	v_div_scale_f64 v[23:24], s[26:27], v[21:22], v[21:22], v[55:56]
	v_rcp_f64_e32 v[57:58], v[23:24]
	v_fma_f64 v[59:60], -v[23:24], v[57:58], 1.0
	v_fma_f64 v[57:58], v[57:58], v[59:60], v[57:58]
	v_div_scale_f64 v[59:60], vcc, v[55:56], v[21:22], v[55:56]
	v_fma_f64 v[61:62], -v[23:24], v[57:58], 1.0
	v_fma_f64 v[57:58], v[57:58], v[61:62], v[57:58]
	v_mul_f64 v[61:62], v[59:60], v[57:58]
	v_fma_f64 v[23:24], -v[23:24], v[61:62], v[59:60]
	v_div_fmas_f64 v[23:24], v[23:24], v[57:58], v[61:62]
	ds_read_b64 v[57:58], v27 offset:80
	ds_read_b64 v[59:60], v28 offset:80
	s_waitcnt lgkmcnt(0)
	v_add_f64 v[59:60], v[59:60], -v[57:58]
	v_div_fixup_f64 v[21:22], v[23:24], v[21:22], v[55:56]
	v_fma_f64 v[23:24], v[21:22], v[59:60], v[57:58]
	ds_write_b64 v25, v[23:24] offset:88
	ds_read_b64 v[23:24], v27 offset:160
	ds_read_b64 v[25:26], v28 offset:160
	s_waitcnt lgkmcnt(0)
	v_add_f64 v[25:26], v[25:26], -v[23:24]
	v_fma_f64 v[21:22], v[21:22], v[25:26], v[23:24]
.LBB0_222:                              ;   in Loop: Header=BB0_217 Depth=2
	s_or_b64 exec, exec, s[24:25]
	v_add_u32_e32 v54, 1, v54
	s_and_b64 s[20:21], s[20:21], exec
                                        ; implicit-def: $vgpr23_vgpr24
                                        ; implicit-def: $vgpr28
	s_andn2_saveexec_b64 s[22:23], s[22:23]
	s_cbranch_execz .LBB0_219
.LBB0_223:                              ;   in Loop: Header=BB0_217 Depth=2
	ds_read_b64 v[25:26], v27
	s_mov_b64 s[26:27], s[20:21]
                                        ; implicit-def: $vgpr21_vgpr22
	s_waitcnt lgkmcnt(0)
	v_cmp_le_f64_e32 vcc, 0, v[25:26]
	s_and_saveexec_b64 s[24:25], vcc
	s_cbranch_execz .LBB0_225
; %bb.224:                              ;   in Loop: Header=BB0_217 Depth=2
	v_add_f64 v[21:22], v[25:26], -v[23:24]
	v_add_f64 v[23:24], -v[23:24], 0
	v_mov_b32_e32 v53, v52
	v_div_scale_f64 v[25:26], s[26:27], v[21:22], v[21:22], v[23:24]
	s_or_b64 s[26:27], s[20:21], exec
	v_rcp_f64_e32 v[55:56], v[25:26]
	v_fma_f64 v[57:58], -v[25:26], v[55:56], 1.0
	v_fma_f64 v[55:56], v[55:56], v[57:58], v[55:56]
	v_div_scale_f64 v[57:58], vcc, v[23:24], v[21:22], v[23:24]
	v_fma_f64 v[59:60], -v[25:26], v[55:56], 1.0
	v_fma_f64 v[55:56], v[55:56], v[59:60], v[55:56]
	v_mul_f64 v[59:60], v[57:58], v[55:56]
	v_fma_f64 v[25:26], -v[25:26], v[59:60], v[57:58]
	v_div_fmas_f64 v[25:26], v[25:26], v[55:56], v[59:60]
	v_lshl_add_u32 v59, v54, 3, v0
	ds_write_b64 v59, v[52:53]
	ds_read_b64 v[55:56], v28 offset:80
	ds_read_b64 v[57:58], v27 offset:80
	s_waitcnt lgkmcnt(0)
	v_add_f64 v[57:58], v[57:58], -v[55:56]
	v_div_fixup_f64 v[21:22], v[25:26], v[21:22], v[23:24]
	v_fma_f64 v[23:24], v[21:22], v[57:58], v[55:56]
	ds_write_b64 v59, v[23:24] offset:80
	ds_read_b64 v[23:24], v28 offset:160
	ds_read_b64 v[25:26], v27 offset:160
	s_waitcnt lgkmcnt(0)
	v_add_f64 v[25:26], v[25:26], -v[23:24]
	v_fma_f64 v[21:22], v[21:22], v[25:26], v[23:24]
.LBB0_225:                              ;   in Loop: Header=BB0_217 Depth=2
	s_or_b64 exec, exec, s[24:25]
	s_andn2_b64 s[20:21], s[20:21], exec
	s_and_b64 s[24:25], s[26:27], exec
	s_or_b64 s[20:21], s[20:21], s[24:25]
	s_or_b64 exec, exec, s[22:23]
	s_and_saveexec_b64 s[22:23], s[20:21]
	s_cbranch_execz .LBB0_216
.LBB0_226:                              ;   in Loop: Header=BB0_217 Depth=2
	v_lshl_add_u32 v23, v54, 3, v0
	v_add_u32_e32 v54, 1, v54
	ds_write_b64 v23, v[21:22] offset:160
	s_branch .LBB0_216
.LBB0_227:                              ;   in Loop: Header=BB0_130 Depth=1
	s_or_b64 exec, exec, s[18:19]
.LBB0_228:                              ;   in Loop: Header=BB0_130 Depth=1
	s_or_b64 exec, exec, s[6:7]
	v_ashrrev_i32_e32 v55, 31, v54
	v_cmp_lt_i32_e64 s[6:7], 0, v54
	s_and_saveexec_b64 s[18:19], s[6:7]
	s_cbranch_execz .LBB0_231
; %bb.229:                              ;   in Loop: Header=BB0_130 Depth=1
	v_mov_b32_e32 v17, v54
	s_mov_b32 s22, 16
	s_mov_b64 s[20:21], 0
	v_mov_b32_e32 v18, v55
	v_mov_b32_e32 v19, v0
.LBB0_230:                              ;   Parent Loop BB0_130 Depth=1
                                        ; =>  This Inner Loop Header: Depth=2
	ds_read2_b64 v[20:23], v19 offset1:10
	v_add_co_u32_e32 v17, vcc, -1, v17
	v_addc_co_u32_e32 v18, vcc, -1, v18, vcc
	v_cmp_eq_u64_e32 vcc, 0, v[17:18]
	v_mov_b32_e32 v26, s22
	s_add_i32 s22, s22, 8
	ds_read_b64 v[24:25], v19 offset:160
	v_add_u32_e32 v19, 8, v19
	s_or_b64 s[20:21], vcc, s[20:21]
	s_waitcnt lgkmcnt(1)
	buffer_store_dword v21, v26, s[0:3], 0 offen offset:4
	buffer_store_dword v20, v26, s[0:3], 0 offen
	buffer_store_dword v23, v26, s[0:3], 0 offen offset:68
	buffer_store_dword v22, v26, s[0:3], 0 offen offset:64
	s_waitcnt lgkmcnt(0)
	buffer_store_dword v25, v26, s[0:3], 0 offen offset:132
	buffer_store_dword v24, v26, s[0:3], 0 offen offset:128
	s_andn2_b64 exec, exec, s[20:21]
	s_cbranch_execnz .LBB0_230
.LBB0_231:                              ;   in Loop: Header=BB0_130 Depth=1
	s_or_b64 exec, exec, s[18:19]
	v_subrev_co_u32_e32 v56, vcc, 1, v54
	s_xor_b64 s[18:19], vcc, -1
	v_ashrrev_i32_e32 v57, 31, v56
	v_mov_b32_e32 v27, 9
	v_lshl_add_u32 v53, v54, 3, v87
	s_and_saveexec_b64 s[20:21], s[18:19]
	s_cbranch_execnz .LBB0_234
; %bb.232:                              ;   in Loop: Header=BB0_130 Depth=1
	s_or_b64 exec, exec, s[20:21]
	v_cmp_gt_i32_e32 vcc, 7, v27
	s_and_saveexec_b64 s[20:21], vcc
	s_cbranch_execnz .LBB0_247
.LBB0_233:                              ;   in Loop: Header=BB0_130 Depth=1
	s_or_b64 exec, exec, s[20:21]
	s_and_saveexec_b64 s[20:21], s[6:7]
	s_cbranch_execnz .LBB0_252
	s_branch .LBB0_254
.LBB0_234:                              ;   in Loop: Header=BB0_130 Depth=1
	v_add_co_u32_e32 v17, vcc, 1, v56
	v_mov_b32_e32 v19, v56
	v_lshl_add_u32 v28, v54, 3, v87
	v_addc_co_u32_e32 v18, vcc, 0, v57, vcc
	v_mov_b32_e32 v27, 9
	s_mov_b64 s[22:23], 0
	v_mov_b32_e32 v21, 0
	v_mov_b32_e32 v20, v57
	;; [unrolled: 1-line block ×3, first 2 shown]
	s_branch .LBB0_236
.LBB0_235:                              ;   in Loop: Header=BB0_236 Depth=2
	s_or_b64 exec, exec, s[26:27]
	v_add_co_u32_e32 v23, vcc, -1, v19
	v_addc_co_u32_e32 v24, vcc, -1, v20, vcc
	v_add_co_u32_e32 v17, vcc, -1, v17
	v_addc_co_u32_e32 v18, vcc, -1, v18, vcc
	v_cmp_eq_u64_e32 vcc, 0, v[17:18]
	v_mov_b32_e32 v22, v20
	v_mov_b32_e32 v21, v19
	;; [unrolled: 1-line block ×3, first 2 shown]
	v_add_u32_e32 v28, -8, v28
	s_or_b64 s[22:23], vcc, s[22:23]
	v_mov_b32_e32 v20, v24
	s_andn2_b64 exec, exec, s[22:23]
	s_cbranch_execz .LBB0_246
.LBB0_236:                              ;   Parent Loop BB0_130 Depth=1
                                        ; =>  This Inner Loop Header: Depth=2
	v_lshl_add_u32 v58, v21, 3, v0
	ds_read_b64 v[23:24], v58 offset:160
	s_mov_b64 s[24:25], 0
                                        ; implicit-def: $vgpr21_vgpr22
	s_waitcnt lgkmcnt(0)
	v_cmp_ge_f64_e32 vcc, v[23:24], v[35:36]
	s_and_saveexec_b64 s[26:27], vcc
	s_xor_b64 s[26:27], exec, s[26:27]
	s_cbranch_execnz .LBB0_239
; %bb.237:                              ;   in Loop: Header=BB0_236 Depth=2
	s_andn2_saveexec_b64 s[26:27], s[26:27]
	s_cbranch_execnz .LBB0_242
.LBB0_238:                              ;   in Loop: Header=BB0_236 Depth=2
	s_or_b64 exec, exec, s[26:27]
	s_and_saveexec_b64 s[26:27], s[24:25]
	s_cbranch_execz .LBB0_235
	s_branch .LBB0_245
.LBB0_239:                              ;   in Loop: Header=BB0_236 Depth=2
	v_lshl_add_u32 v25, v27, 3, v0
	ds_write_b64 v25, v[23:24] offset:160
	ds_read_b64 v[21:22], v58
	s_waitcnt lgkmcnt(0)
	ds_write_b64 v25, v[21:22]
	ds_read_b64 v[21:22], v58 offset:80
	s_waitcnt lgkmcnt(0)
	ds_write_b64 v25, v[21:22] offset:80
	ds_read_b64 v[23:24], v28 offset:160
                                        ; implicit-def: $vgpr21_vgpr22
	s_waitcnt lgkmcnt(0)
	v_cmp_lt_f64_e32 vcc, v[23:24], v[35:36]
	s_and_saveexec_b64 s[28:29], vcc
	s_cbranch_execz .LBB0_241
; %bb.240:                              ;   in Loop: Header=BB0_236 Depth=2
	ds_read_b64 v[21:22], v58 offset:160
	v_add_f64 v[59:60], v[35:36], -v[23:24]
	ds_write_b64 v25, v[35:36] offset:152
	v_add_u32_e32 v25, -8, v25
	s_mov_b64 s[24:25], exec
	s_waitcnt lgkmcnt(1)
	v_add_f64 v[21:22], v[21:22], -v[23:24]
	v_div_scale_f64 v[23:24], s[30:31], v[21:22], v[21:22], v[59:60]
	v_rcp_f64_e32 v[61:62], v[23:24]
	v_fma_f64 v[63:64], -v[23:24], v[61:62], 1.0
	v_fma_f64 v[61:62], v[61:62], v[63:64], v[61:62]
	v_div_scale_f64 v[63:64], vcc, v[59:60], v[21:22], v[59:60]
	v_fma_f64 v[65:66], -v[23:24], v[61:62], 1.0
	v_fma_f64 v[61:62], v[61:62], v[65:66], v[61:62]
	v_mul_f64 v[65:66], v[63:64], v[61:62]
	v_fma_f64 v[23:24], -v[23:24], v[65:66], v[63:64]
	v_div_fmas_f64 v[23:24], v[23:24], v[61:62], v[65:66]
	ds_read_b64 v[61:62], v28
	ds_read_b64 v[63:64], v58
	s_waitcnt lgkmcnt(0)
	v_add_f64 v[63:64], v[63:64], -v[61:62]
	v_div_fixup_f64 v[21:22], v[23:24], v[21:22], v[59:60]
	v_fma_f64 v[23:24], v[21:22], v[63:64], v[61:62]
	ds_write_b64 v25, v[23:24]
	ds_read_b64 v[23:24], v28 offset:80
	ds_read_b64 v[25:26], v58 offset:80
	s_waitcnt lgkmcnt(0)
	v_add_f64 v[25:26], v[25:26], -v[23:24]
	v_fma_f64 v[21:22], v[21:22], v[25:26], v[23:24]
.LBB0_241:                              ;   in Loop: Header=BB0_236 Depth=2
	s_or_b64 exec, exec, s[28:29]
	v_add_u32_e32 v27, -1, v27
	s_and_b64 s[24:25], s[24:25], exec
                                        ; implicit-def: $vgpr23_vgpr24
                                        ; implicit-def: $vgpr58
	s_andn2_saveexec_b64 s[26:27], s[26:27]
	s_cbranch_execz .LBB0_238
.LBB0_242:                              ;   in Loop: Header=BB0_236 Depth=2
	ds_read_b64 v[25:26], v28 offset:160
	s_mov_b64 s[30:31], s[24:25]
                                        ; implicit-def: $vgpr21_vgpr22
	s_waitcnt lgkmcnt(0)
	v_cmp_ge_f64_e32 vcc, v[25:26], v[35:36]
	s_and_saveexec_b64 s[28:29], vcc
	s_cbranch_execz .LBB0_244
; %bb.243:                              ;   in Loop: Header=BB0_236 Depth=2
	v_add_f64 v[21:22], v[25:26], -v[23:24]
	v_add_f64 v[23:24], v[35:36], -v[23:24]
	v_div_scale_f64 v[25:26], s[30:31], v[21:22], v[21:22], v[23:24]
	s_or_b64 s[30:31], s[24:25], exec
	v_rcp_f64_e32 v[59:60], v[25:26]
	v_fma_f64 v[61:62], -v[25:26], v[59:60], 1.0
	v_fma_f64 v[59:60], v[59:60], v[61:62], v[59:60]
	v_div_scale_f64 v[61:62], vcc, v[23:24], v[21:22], v[23:24]
	v_fma_f64 v[63:64], -v[25:26], v[59:60], 1.0
	v_fma_f64 v[59:60], v[59:60], v[63:64], v[59:60]
	v_mul_f64 v[63:64], v[61:62], v[59:60]
	v_fma_f64 v[25:26], -v[25:26], v[63:64], v[61:62]
	v_div_fmas_f64 v[25:26], v[25:26], v[59:60], v[63:64]
	v_lshl_add_u32 v63, v27, 3, v0
	ds_write_b64 v63, v[35:36] offset:160
	ds_read_b64 v[59:60], v58
	ds_read_b64 v[61:62], v28
	s_waitcnt lgkmcnt(0)
	v_add_f64 v[61:62], v[61:62], -v[59:60]
	v_div_fixup_f64 v[21:22], v[25:26], v[21:22], v[23:24]
	v_fma_f64 v[23:24], v[21:22], v[61:62], v[59:60]
	ds_write_b64 v63, v[23:24]
	ds_read_b64 v[23:24], v58 offset:80
	ds_read_b64 v[25:26], v28 offset:80
	s_waitcnt lgkmcnt(0)
	v_add_f64 v[25:26], v[25:26], -v[23:24]
	v_fma_f64 v[21:22], v[21:22], v[25:26], v[23:24]
.LBB0_244:                              ;   in Loop: Header=BB0_236 Depth=2
	s_or_b64 exec, exec, s[28:29]
	s_andn2_b64 s[24:25], s[24:25], exec
	s_and_b64 s[28:29], s[30:31], exec
	s_or_b64 s[24:25], s[24:25], s[28:29]
	s_or_b64 exec, exec, s[26:27]
	s_and_saveexec_b64 s[26:27], s[24:25]
	s_cbranch_execz .LBB0_235
.LBB0_245:                              ;   in Loop: Header=BB0_236 Depth=2
	v_lshl_add_u32 v23, v27, 3, v0
	v_add_u32_e32 v27, -1, v27
	ds_write_b64 v23, v[21:22] offset:80
	s_branch .LBB0_235
.LBB0_246:                              ;   in Loop: Header=BB0_130 Depth=1
	s_or_b64 exec, exec, s[22:23]
	s_or_b64 exec, exec, s[20:21]
	v_cmp_gt_i32_e32 vcc, 7, v27
	s_and_saveexec_b64 s[20:21], vcc
	s_cbranch_execz .LBB0_233
.LBB0_247:                              ;   in Loop: Header=BB0_130 Depth=1
	v_sub_u32_e32 v58, 9, v27
	v_mov_b32_e32 v59, v52
	v_lshlrev_b32_e32 v60, 3, v27
	v_mov_b32_e32 v17, v58
	v_add_u32_e32 v19, v88, v60
	s_mov_b64 s[22:23], 0
	v_mov_b32_e32 v18, v59
.LBB0_248:                              ;   Parent Loop BB0_130 Depth=1
                                        ; =>  This Inner Loop Header: Depth=2
	v_add_co_u32_e32 v17, vcc, -1, v17
	v_addc_co_u32_e32 v18, vcc, -1, v18, vcc
	v_cmp_eq_u64_e32 vcc, 0, v[17:18]
	ds_write_b64 v19, v[35:36]
	s_or_b64 s[22:23], vcc, s[22:23]
	v_add_u32_e32 v19, 8, v19
	s_andn2_b64 exec, exec, s[22:23]
	s_cbranch_execnz .LBB0_248
; %bb.249:                              ;   in Loop: Header=BB0_130 Depth=1
	s_or_b64 exec, exec, s[22:23]
	v_lshl_add_u32 v25, v27, 3, v0
	ds_read2_b64 v[17:20], v25 offset0:1 offset1:2
	ds_read2_b64 v[21:24], v25 offset0:11 offset1:12
	;; [unrolled: 1-line block ×3, first 2 shown]
	v_add_co_u32_e32 v58, vcc, -2, v58
	v_add_u32_e32 v94, v89, v60
	v_addc_co_u32_e64 v59, s[22:23], 0, -1, vcc
	v_mov_b32_e32 v60, 0
	v_mov_b32_e32 v62, 0
	;; [unrolled: 1-line block ×8, first 2 shown]
	s_mov_b64 s[22:23], 0
.LBB0_250:                              ;   Parent Loop BB0_130 Depth=1
                                        ; =>  This Inner Loop Header: Depth=2
	ds_read2_b64 v[95:98], v94 offset1:10
	ds_read_b64 v[99:100], v94 offset:160
	s_waitcnt lgkmcnt(2)
	v_add_f64 v[101:102], v[25:26], v[27:28]
	v_add_f64 v[103:104], v[17:18], v[19:20]
	;; [unrolled: 1-line block ×3, first 2 shown]
	v_add_f64 v[107:108], v[17:18], -v[19:20]
	s_waitcnt lgkmcnt(1)
	v_add_f64 v[109:110], v[19:20], v[95:96]
	v_add_f64 v[23:24], v[23:24], v[97:98]
	v_add_f64 v[19:20], v[19:20], -v[95:96]
	s_waitcnt lgkmcnt(0)
	v_add_f64 v[27:28], v[27:28], v[99:100]
	v_mul_f64 v[119:120], v[101:102], 0.5
	v_add_f64 v[111:112], v[25:26], v[99:100]
	v_add_f64 v[115:116], v[21:22], v[97:98]
	v_add_f64 v[117:118], v[95:96], -v[17:18]
	v_fma_f64 v[101:102], v[101:102], 0.5, 0
	v_fma_f64 v[103:104], v[37:38], v[103:104], v[1:2]
	v_mul_f64 v[19:20], v[19:20], v[23:24]
	v_fma_f64 v[121:122], v[39:40], v[105:106], v[5:6]
	v_mul_f64 v[123:124], v[27:28], 0.5
	v_fma_f64 v[129:130], v[119:120], 0.5, v[7:8]
	v_add_f64 v[113:114], v[17:18], v[95:96]
	v_fma_f64 v[109:110], v[37:38], v[109:110], v[1:2]
	v_fma_f64 v[125:126], v[39:40], v[23:24], v[5:6]
	v_mul_f64 v[23:24], v[111:112], 0.5
	v_fma_f64 v[19:20], v[107:108], v[105:106], v[19:20]
	v_fma_f64 v[103:104], v[103:104], v[119:120], 0
	v_fma_f64 v[121:122], v[119:120], v[121:122], 0
	v_fma_f64 v[27:28], v[27:28], 0.5, v[101:102]
	v_fma_f64 v[101:102], v[123:124], 0.5, v[7:8]
	v_fma_f64 v[107:108], v[119:120], v[129:130], 0
	v_fma_f64 v[113:114], v[37:38], v[113:114], v[1:2]
	;; [unrolled: 1-line block ×4, first 2 shown]
	v_fma_f64 v[105:106], v[23:24], 0.5, v[7:8]
	v_fma_f64 v[103:104], v[109:110], v[123:124], v[103:104]
	v_fma_f64 v[109:110], v[123:124], v[125:126], v[121:122]
	v_fma_f64 v[27:28], v[111:112], 0.5, v[27:28]
	v_fma_f64 v[101:102], v[123:124], v[101:102], v[107:108]
	v_add_co_u32_e32 v58, vcc, -1, v58
	v_mul_f64 v[19:20], v[19:20], 0.5
	v_addc_co_u32_e32 v59, vcc, -1, v59, vcc
	v_fma_f64 v[103:104], v[113:114], v[23:24], v[103:104]
	v_fma_f64 v[107:108], v[23:24], v[127:128], v[109:110]
	;; [unrolled: 1-line block ×3, first 2 shown]
	v_cmp_eq_u64_e32 vcc, 0, v[58:59]
	v_add_u32_e32 v94, 8, v94
	v_mul_f64 v[19:20], v[19:20], s[14:15]
	s_or_b64 s[22:23], vcc, s[22:23]
	v_fma_f64 v[60:61], v[27:28], v[19:20], v[60:61]
	v_fma_f64 v[62:63], v[19:20], v[103:104], v[62:63]
	;; [unrolled: 1-line block ×4, first 2 shown]
	v_mov_b32_e32 v19, v95
	v_mov_b32_e32 v23, v97
	v_mov_b32_e32 v27, v99
	v_mov_b32_e32 v20, v96
	v_mov_b32_e32 v24, v98
	v_mov_b32_e32 v28, v100
	s_andn2_b64 exec, exec, s[22:23]
	s_cbranch_execnz .LBB0_250
; %bb.251:                              ;   in Loop: Header=BB0_130 Depth=1
	s_or_b64 exec, exec, s[22:23]
	v_fma_f64 v[9:10], v[3:4], v[60:61], v[9:10]
	v_fma_f64 v[11:12], v[3:4], v[62:63], v[11:12]
	;; [unrolled: 1-line block ×4, first 2 shown]
	s_or_b64 exec, exec, s[20:21]
	s_and_saveexec_b64 s[20:21], s[6:7]
	s_cbranch_execz .LBB0_254
.LBB0_252:                              ;   in Loop: Header=BB0_130 Depth=1
	s_mov_b32 s22, 16
	s_mov_b64 s[6:7], 0
	v_mov_b32_e32 v17, v0
.LBB0_253:                              ;   Parent Loop BB0_130 Depth=1
                                        ; =>  This Inner Loop Header: Depth=2
	v_mov_b32_e32 v24, s22
	buffer_load_dword v18, v24, s[0:3], 0 offen
	buffer_load_dword v19, v24, s[0:3], 0 offen offset:4
	buffer_load_dword v21, v24, s[0:3], 0 offen offset:68
	;; [unrolled: 1-line block ×5, first 2 shown]
	v_add_co_u32_e32 v54, vcc, -1, v54
	v_addc_co_u32_e32 v55, vcc, -1, v55, vcc
	v_cmp_eq_u64_e32 vcc, 0, v[54:55]
	s_add_i32 s22, s22, 8
	s_or_b64 s[6:7], vcc, s[6:7]
	s_waitcnt vmcnt(1)
	ds_write2_b64 v17, v[18:19], v[20:21] offset1:10
	s_waitcnt vmcnt(0)
	ds_write_b64 v17, v[22:23] offset:160
	v_add_u32_e32 v17, 8, v17
	s_andn2_b64 exec, exec, s[6:7]
	s_cbranch_execnz .LBB0_253
.LBB0_254:                              ;   in Loop: Header=BB0_130 Depth=1
	s_or_b64 exec, exec, s[20:21]
	v_mov_b32_e32 v17, 10
	v_mov_b32_e32 v18, 0
	s_and_saveexec_b64 s[6:7], s[18:19]
	s_cbranch_execz .LBB0_268
; %bb.255:                              ;   in Loop: Header=BB0_130 Depth=1
	v_add_co_u32_e32 v17, vcc, 1, v56
	v_addc_co_u32_e32 v18, vcc, 0, v57, vcc
	v_mov_b32_e32 v26, 9
	v_mov_b32_e32 v19, 0
	s_mov_b64 s[18:19], 0
	v_mov_b32_e32 v20, 0
	s_branch .LBB0_257
.LBB0_256:                              ;   in Loop: Header=BB0_257 Depth=2
	s_or_b64 exec, exec, s[22:23]
	v_add_co_u32_e32 v21, vcc, -1, v56
	v_addc_co_u32_e32 v22, vcc, -1, v57, vcc
	v_add_co_u32_e32 v17, vcc, -1, v17
	v_addc_co_u32_e32 v18, vcc, -1, v18, vcc
	v_cmp_eq_u64_e32 vcc, 0, v[17:18]
	v_mov_b32_e32 v19, v56
	v_mov_b32_e32 v20, v57
	;; [unrolled: 1-line block ×3, first 2 shown]
	v_add_u32_e32 v53, -8, v53
	s_or_b64 s[18:19], vcc, s[18:19]
	v_mov_b32_e32 v26, v24
	v_mov_b32_e32 v56, v21
	s_andn2_b64 exec, exec, s[18:19]
	s_cbranch_execz .LBB0_267
.LBB0_257:                              ;   Parent Loop BB0_130 Depth=1
                                        ; =>  This Inner Loop Header: Depth=2
	v_lshl_add_u32 v27, v19, 3, v0
	ds_read_b64 v[22:23], v27 offset:160
	s_mov_b64 s[20:21], 0
                                        ; implicit-def: $vgpr20_vgpr21
                                        ; implicit-def: $vgpr28
	s_waitcnt lgkmcnt(0)
	v_cmp_nlt_f64_e32 vcc, v[22:23], v[35:36]
	s_and_saveexec_b64 s[22:23], vcc
	s_xor_b64 s[22:23], exec, s[22:23]
	s_cbranch_execz .LBB0_261
; %bb.258:                              ;   in Loop: Header=BB0_257 Depth=2
	ds_read_b64 v[24:25], v53 offset:160
                                        ; implicit-def: $vgpr20_vgpr21
                                        ; implicit-def: $vgpr28
	s_waitcnt lgkmcnt(0)
	v_cmp_lt_f64_e32 vcc, v[24:25], v[35:36]
	s_and_saveexec_b64 s[24:25], vcc
	s_xor_b64 s[24:25], exec, s[24:25]
	s_cbranch_execz .LBB0_260
; %bb.259:                              ;   in Loop: Header=BB0_257 Depth=2
	v_add_f64 v[20:21], v[22:23], -v[24:25]
	v_add_f64 v[22:23], v[35:36], -v[24:25]
	s_mov_b64 s[20:21], exec
	v_div_scale_f64 v[24:25], s[26:27], v[20:21], v[20:21], v[22:23]
	v_rcp_f64_e32 v[54:55], v[24:25]
	v_fma_f64 v[58:59], -v[24:25], v[54:55], 1.0
	v_fma_f64 v[54:55], v[54:55], v[58:59], v[54:55]
	v_div_scale_f64 v[58:59], vcc, v[22:23], v[20:21], v[22:23]
	v_fma_f64 v[60:61], -v[24:25], v[54:55], 1.0
	v_fma_f64 v[54:55], v[54:55], v[60:61], v[54:55]
	v_mul_f64 v[60:61], v[58:59], v[54:55]
	v_fma_f64 v[24:25], -v[24:25], v[60:61], v[58:59]
	v_lshl_add_u32 v58, v26, 3, v0
	ds_write_b64 v58, v[35:36] offset:160
	v_div_fmas_f64 v[24:25], v[24:25], v[54:55], v[60:61]
	ds_read_b64 v[54:55], v53
	ds_read_b64 v[27:28], v27
	s_waitcnt lgkmcnt(0)
	v_add_f64 v[27:28], v[27:28], -v[54:55]
	v_div_fixup_f64 v[20:21], v[24:25], v[20:21], v[22:23]
	v_fma_f64 v[22:23], v[20:21], v[27:28], v[54:55]
	v_add_u32_e32 v28, 0x50, v53
	ds_write_b64 v58, v[22:23]
.LBB0_260:                              ;   in Loop: Header=BB0_257 Depth=2
	s_or_b64 exec, exec, s[24:25]
	s_and_b64 s[20:21], s[20:21], exec
                                        ; implicit-def: $vgpr27
                                        ; implicit-def: $vgpr22_vgpr23
.LBB0_261:                              ;   in Loop: Header=BB0_257 Depth=2
	s_or_saveexec_b64 s[22:23], s[22:23]
	v_mov_b32_e32 v25, -1
	v_mov_b32_e32 v24, v26
	s_xor_b64 exec, exec, s[22:23]
	s_cbranch_execz .LBB0_265
; %bb.262:                              ;   in Loop: Header=BB0_257 Depth=2
	v_lshl_add_u32 v24, v26, 3, v0
	ds_write_b64 v24, v[22:23] offset:160
	ds_read_b64 v[19:20], v27
	s_mov_b64 s[26:27], s[20:21]
	s_waitcnt lgkmcnt(0)
	ds_write_b64 v24, v[19:20]
	ds_read_b64 v[19:20], v27 offset:80
	s_waitcnt lgkmcnt(0)
	ds_write_b64 v24, v[19:20] offset:80
	ds_read_b64 v[22:23], v53 offset:160
                                        ; implicit-def: $vgpr20_vgpr21
                                        ; implicit-def: $vgpr19
	s_waitcnt lgkmcnt(0)
	v_cmp_ge_f64_e32 vcc, v[22:23], v[35:36]
	s_and_saveexec_b64 s[24:25], vcc
	s_cbranch_execz .LBB0_264
; %bb.263:                              ;   in Loop: Header=BB0_257 Depth=2
	ds_read_b64 v[19:20], v27 offset:160
	ds_write_b64 v24, v[35:36] offset:152
	s_waitcnt lgkmcnt(1)
	v_add_f64 v[21:22], v[22:23], -v[19:20]
	v_add_f64 v[19:20], v[35:36], -v[19:20]
	v_div_scale_f64 v[54:55], s[26:27], v[21:22], v[21:22], v[19:20]
	s_or_b64 s[26:27], s[20:21], exec
	v_rcp_f64_e32 v[58:59], v[54:55]
	v_fma_f64 v[60:61], -v[54:55], v[58:59], 1.0
	v_fma_f64 v[58:59], v[58:59], v[60:61], v[58:59]
	v_div_scale_f64 v[60:61], vcc, v[19:20], v[21:22], v[19:20]
	v_fma_f64 v[62:63], -v[54:55], v[58:59], 1.0
	v_fma_f64 v[58:59], v[58:59], v[62:63], v[58:59]
	v_mul_f64 v[62:63], v[60:61], v[58:59]
	v_fma_f64 v[54:55], -v[54:55], v[62:63], v[60:61]
	v_div_fmas_f64 v[54:55], v[54:55], v[58:59], v[62:63]
	ds_read_b64 v[58:59], v27
	ds_read_b64 v[60:61], v53
	s_waitcnt lgkmcnt(0)
	v_add_f64 v[60:61], v[60:61], -v[58:59]
	v_div_fixup_f64 v[20:21], v[54:55], v[21:22], v[19:20]
	v_add_u32_e32 v19, -8, v24
	v_fma_f64 v[22:23], v[20:21], v[60:61], v[58:59]
	ds_write_b64 v19, v[22:23]
	v_mov_b32_e32 v19, v56
.LBB0_264:                              ;   in Loop: Header=BB0_257 Depth=2
	s_or_b64 exec, exec, s[24:25]
	s_andn2_b64 s[20:21], s[20:21], exec
	s_and_b64 s[24:25], s[26:27], exec
	v_add_u32_e32 v28, 0x50, v27
	v_add_u32_e32 v24, -1, v26
	v_mov_b32_e32 v25, -2
	s_or_b64 s[20:21], s[20:21], s[24:25]
.LBB0_265:                              ;   in Loop: Header=BB0_257 Depth=2
	s_or_b64 exec, exec, s[22:23]
	s_and_saveexec_b64 s[22:23], s[20:21]
	s_cbranch_execz .LBB0_256
; %bb.266:                              ;   in Loop: Header=BB0_257 Depth=2
	v_lshl_add_u32 v19, v19, 3, v0
	ds_read_b64 v[22:23], v28
	ds_read_b64 v[27:28], v19 offset:80
	s_waitcnt lgkmcnt(0)
	v_add_f64 v[27:28], v[27:28], -v[22:23]
	v_fma_f64 v[19:20], v[20:21], v[27:28], v[22:23]
	v_lshl_add_u32 v21, v24, 3, v0
	v_add_u32_e32 v24, v25, v26
	ds_write_b64 v21, v[19:20] offset:80
	s_branch .LBB0_256
.LBB0_267:                              ;   in Loop: Header=BB0_130 Depth=1
	s_or_b64 exec, exec, s[18:19]
	v_add_u32_e32 v17, 1, v24
	v_ashrrev_i32_e32 v18, 31, v17
.LBB0_268:                              ;   in Loop: Header=BB0_130 Depth=1
	s_or_b64 exec, exec, s[6:7]
	v_cmp_ne_u64_e32 vcc, 10, v[17:18]
	v_mov_b32_e32 v54, 0
	s_and_saveexec_b64 s[6:7], vcc
	s_cbranch_execz .LBB0_282
; %bb.269:                              ;   in Loop: Header=BB0_130 Depth=1
	v_add_co_u32_e32 v19, vcc, -10, v17
	v_lshl_add_u32 v27, v17, 3, v0
	v_addc_co_u32_e32 v20, vcc, -1, v18, vcc
	v_mov_b32_e32 v54, 0
	v_mov_b32_e32 v21, 9
	s_mov_b64 s[18:19], 0
	v_mov_b32_e32 v22, 0
	s_branch .LBB0_271
.LBB0_270:                              ;   in Loop: Header=BB0_271 Depth=2
	s_or_b64 exec, exec, s[22:23]
	v_add_co_u32_e32 v23, vcc, 1, v17
	v_addc_co_u32_e32 v24, vcc, 0, v18, vcc
	v_add_co_u32_e32 v19, vcc, 1, v19
	v_addc_co_u32_e32 v20, vcc, 0, v20, vcc
	v_cmp_eq_u64_e32 vcc, 0, v[19:20]
	v_mov_b32_e32 v22, v18
	v_mov_b32_e32 v21, v17
	v_mov_b32_e32 v17, v23
	v_add_u32_e32 v27, 8, v27
	s_or_b64 s[18:19], vcc, s[18:19]
	v_mov_b32_e32 v18, v24
	s_andn2_b64 exec, exec, s[18:19]
	s_cbranch_execz .LBB0_281
.LBB0_271:                              ;   Parent Loop BB0_130 Depth=1
                                        ; =>  This Inner Loop Header: Depth=2
	v_lshl_add_u32 v28, v21, 3, v0
	ds_read_b64 v[23:24], v28 offset:160
	s_mov_b64 s[20:21], 0
                                        ; implicit-def: $vgpr21_vgpr22
	s_waitcnt lgkmcnt(0)
	v_cmp_le_f64_e32 vcc, 0, v[23:24]
	s_and_saveexec_b64 s[22:23], vcc
	s_xor_b64 s[22:23], exec, s[22:23]
	s_cbranch_execnz .LBB0_274
; %bb.272:                              ;   in Loop: Header=BB0_271 Depth=2
	s_andn2_saveexec_b64 s[22:23], s[22:23]
	s_cbranch_execnz .LBB0_277
.LBB0_273:                              ;   in Loop: Header=BB0_271 Depth=2
	s_or_b64 exec, exec, s[22:23]
	s_and_saveexec_b64 s[22:23], s[20:21]
	s_cbranch_execz .LBB0_270
	s_branch .LBB0_280
.LBB0_274:                              ;   in Loop: Header=BB0_271 Depth=2
	v_lshl_add_u32 v25, v54, 3, v0
	ds_write_b64 v25, v[23:24] offset:160
	ds_read_b64 v[21:22], v28
	s_waitcnt lgkmcnt(0)
	ds_write_b64 v25, v[21:22]
	ds_read_b64 v[21:22], v28 offset:80
	s_waitcnt lgkmcnt(0)
	ds_write_b64 v25, v[21:22] offset:80
	ds_read_b64 v[23:24], v27 offset:160
                                        ; implicit-def: $vgpr21_vgpr22
	s_waitcnt lgkmcnt(0)
	v_cmp_gt_f64_e32 vcc, 0, v[23:24]
	s_and_saveexec_b64 s[24:25], vcc
	s_cbranch_execz .LBB0_276
; %bb.275:                              ;   in Loop: Header=BB0_271 Depth=2
	ds_read_b64 v[21:22], v28 offset:160
	v_add_f64 v[55:56], -v[23:24], 0
	v_mov_b32_e32 v53, v52
	ds_write_b64 v25, v[52:53] offset:168
	s_mov_b64 s[20:21], exec
	s_waitcnt lgkmcnt(1)
	v_add_f64 v[21:22], v[21:22], -v[23:24]
	v_div_scale_f64 v[23:24], s[26:27], v[21:22], v[21:22], v[55:56]
	v_rcp_f64_e32 v[57:58], v[23:24]
	v_fma_f64 v[59:60], -v[23:24], v[57:58], 1.0
	v_fma_f64 v[57:58], v[57:58], v[59:60], v[57:58]
	v_div_scale_f64 v[59:60], vcc, v[55:56], v[21:22], v[55:56]
	v_fma_f64 v[61:62], -v[23:24], v[57:58], 1.0
	v_fma_f64 v[57:58], v[57:58], v[61:62], v[57:58]
	v_mul_f64 v[61:62], v[59:60], v[57:58]
	v_fma_f64 v[23:24], -v[23:24], v[61:62], v[59:60]
	v_div_fmas_f64 v[23:24], v[23:24], v[57:58], v[61:62]
	ds_read_b64 v[57:58], v27
	ds_read_b64 v[59:60], v28
	s_waitcnt lgkmcnt(0)
	v_add_f64 v[59:60], v[59:60], -v[57:58]
	v_div_fixup_f64 v[21:22], v[23:24], v[21:22], v[55:56]
	v_fma_f64 v[23:24], v[21:22], v[59:60], v[57:58]
	ds_write_b64 v25, v[23:24] offset:8
	ds_read_b64 v[23:24], v27 offset:80
	ds_read_b64 v[25:26], v28 offset:80
	s_waitcnt lgkmcnt(0)
	v_add_f64 v[25:26], v[25:26], -v[23:24]
	v_fma_f64 v[21:22], v[21:22], v[25:26], v[23:24]
.LBB0_276:                              ;   in Loop: Header=BB0_271 Depth=2
	s_or_b64 exec, exec, s[24:25]
	v_add_u32_e32 v54, 1, v54
	s_and_b64 s[20:21], s[20:21], exec
                                        ; implicit-def: $vgpr23_vgpr24
                                        ; implicit-def: $vgpr28
	s_andn2_saveexec_b64 s[22:23], s[22:23]
	s_cbranch_execz .LBB0_273
.LBB0_277:                              ;   in Loop: Header=BB0_271 Depth=2
	ds_read_b64 v[25:26], v27 offset:160
	s_mov_b64 s[26:27], s[20:21]
                                        ; implicit-def: $vgpr21_vgpr22
	s_waitcnt lgkmcnt(0)
	v_cmp_le_f64_e32 vcc, 0, v[25:26]
	s_and_saveexec_b64 s[24:25], vcc
	s_cbranch_execz .LBB0_279
; %bb.278:                              ;   in Loop: Header=BB0_271 Depth=2
	v_add_f64 v[21:22], v[25:26], -v[23:24]
	v_add_f64 v[23:24], -v[23:24], 0
	v_mov_b32_e32 v53, v52
	v_div_scale_f64 v[25:26], s[26:27], v[21:22], v[21:22], v[23:24]
	s_or_b64 s[26:27], s[20:21], exec
	v_rcp_f64_e32 v[55:56], v[25:26]
	v_fma_f64 v[57:58], -v[25:26], v[55:56], 1.0
	v_fma_f64 v[55:56], v[55:56], v[57:58], v[55:56]
	v_div_scale_f64 v[57:58], vcc, v[23:24], v[21:22], v[23:24]
	v_fma_f64 v[59:60], -v[25:26], v[55:56], 1.0
	v_fma_f64 v[55:56], v[55:56], v[59:60], v[55:56]
	v_mul_f64 v[59:60], v[57:58], v[55:56]
	v_fma_f64 v[25:26], -v[25:26], v[59:60], v[57:58]
	v_div_fmas_f64 v[25:26], v[25:26], v[55:56], v[59:60]
	v_lshl_add_u32 v59, v54, 3, v0
	ds_write_b64 v59, v[52:53] offset:160
	ds_read_b64 v[55:56], v28
	ds_read_b64 v[57:58], v27
	s_waitcnt lgkmcnt(0)
	v_add_f64 v[57:58], v[57:58], -v[55:56]
	v_div_fixup_f64 v[21:22], v[25:26], v[21:22], v[23:24]
	v_fma_f64 v[23:24], v[21:22], v[57:58], v[55:56]
	ds_write_b64 v59, v[23:24]
	ds_read_b64 v[23:24], v28 offset:80
	ds_read_b64 v[25:26], v27 offset:80
	s_waitcnt lgkmcnt(0)
	v_add_f64 v[25:26], v[25:26], -v[23:24]
	v_fma_f64 v[21:22], v[21:22], v[25:26], v[23:24]
.LBB0_279:                              ;   in Loop: Header=BB0_271 Depth=2
	s_or_b64 exec, exec, s[24:25]
	s_andn2_b64 s[20:21], s[20:21], exec
	s_and_b64 s[24:25], s[26:27], exec
	s_or_b64 s[20:21], s[20:21], s[24:25]
	s_or_b64 exec, exec, s[22:23]
	s_and_saveexec_b64 s[22:23], s[20:21]
	s_cbranch_execz .LBB0_270
.LBB0_280:                              ;   in Loop: Header=BB0_271 Depth=2
	v_lshl_add_u32 v23, v54, 3, v0
	v_add_u32_e32 v54, 1, v54
	ds_write_b64 v23, v[21:22] offset:80
	s_branch .LBB0_270
.LBB0_281:                              ;   in Loop: Header=BB0_130 Depth=1
	s_or_b64 exec, exec, s[18:19]
.LBB0_282:                              ;   in Loop: Header=BB0_130 Depth=1
	s_or_b64 exec, exec, s[6:7]
	v_cmp_lt_i32_e32 vcc, 2, v54
	s_and_saveexec_b64 s[6:7], vcc
	s_cbranch_execz .LBB0_129
; %bb.283:                              ;   in Loop: Header=BB0_130 Depth=1
	ds_read2_b64 v[17:20], v0 offset1:1
	ds_read2_b64 v[21:24], v0 offset0:10 offset1:11
	ds_read2_b64 v[25:28], v0 offset0:20 offset1:21
	v_add_co_u32_e32 v53, vcc, -2, v54
	v_addc_co_u32_e64 v54, s[18:19], 0, -1, vcc
	v_mov_b32_e32 v55, 0
	v_mov_b32_e32 v57, 0
	;; [unrolled: 1-line block ×5, first 2 shown]
	s_mov_b64 s[18:19], 0
	v_mov_b32_e32 v58, 0
	v_mov_b32_e32 v60, 0
	v_mov_b32_e32 v62, 0
	v_mov_b32_e32 v63, v90
.LBB0_284:                              ;   Parent Loop BB0_130 Depth=1
                                        ; =>  This Inner Loop Header: Depth=2
	ds_read2_b64 v[64:67], v63 offset1:10
	ds_read_b64 v[94:95], v63 offset:160
	s_waitcnt lgkmcnt(2)
	v_add_f64 v[96:97], v[25:26], v[27:28]
	v_add_f64 v[98:99], v[17:18], v[19:20]
	;; [unrolled: 1-line block ×3, first 2 shown]
	v_add_f64 v[102:103], v[17:18], -v[19:20]
	s_waitcnt lgkmcnt(1)
	v_add_f64 v[104:105], v[19:20], v[64:65]
	v_add_f64 v[23:24], v[23:24], v[66:67]
	v_add_f64 v[19:20], v[19:20], -v[64:65]
	s_waitcnt lgkmcnt(0)
	v_add_f64 v[27:28], v[27:28], v[94:95]
	v_mul_f64 v[114:115], v[96:97], 0.5
	v_add_f64 v[106:107], v[25:26], v[94:95]
	v_add_f64 v[110:111], v[21:22], v[66:67]
	v_add_f64 v[112:113], v[64:65], -v[17:18]
	v_fma_f64 v[96:97], v[96:97], 0.5, 0
	v_fma_f64 v[98:99], v[37:38], v[98:99], v[1:2]
	v_mul_f64 v[19:20], v[19:20], v[23:24]
	v_fma_f64 v[116:117], v[39:40], v[100:101], v[5:6]
	v_mul_f64 v[118:119], v[27:28], 0.5
	v_fma_f64 v[124:125], v[114:115], 0.5, v[7:8]
	v_add_f64 v[108:109], v[17:18], v[64:65]
	v_fma_f64 v[104:105], v[37:38], v[104:105], v[1:2]
	v_fma_f64 v[120:121], v[39:40], v[23:24], v[5:6]
	v_mul_f64 v[23:24], v[106:107], 0.5
	v_fma_f64 v[19:20], v[102:103], v[100:101], v[19:20]
	v_fma_f64 v[98:99], v[98:99], v[114:115], 0
	;; [unrolled: 1-line block ×3, first 2 shown]
	v_fma_f64 v[27:28], v[27:28], 0.5, v[96:97]
	v_fma_f64 v[96:97], v[118:119], 0.5, v[7:8]
	v_fma_f64 v[102:103], v[114:115], v[124:125], 0
	v_fma_f64 v[108:109], v[37:38], v[108:109], v[1:2]
	;; [unrolled: 1-line block ×4, first 2 shown]
	v_fma_f64 v[100:101], v[23:24], 0.5, v[7:8]
	v_fma_f64 v[98:99], v[104:105], v[118:119], v[98:99]
	v_fma_f64 v[104:105], v[118:119], v[120:121], v[116:117]
	v_fma_f64 v[27:28], v[106:107], 0.5, v[27:28]
	v_fma_f64 v[96:97], v[118:119], v[96:97], v[102:103]
	v_add_co_u32_e32 v53, vcc, -1, v53
	v_mul_f64 v[19:20], v[19:20], 0.5
	v_addc_co_u32_e32 v54, vcc, -1, v54, vcc
	v_fma_f64 v[98:99], v[108:109], v[23:24], v[98:99]
	v_fma_f64 v[102:103], v[23:24], v[122:123], v[104:105]
	;; [unrolled: 1-line block ×3, first 2 shown]
	v_cmp_eq_u64_e32 vcc, 0, v[53:54]
	v_add_u32_e32 v63, 8, v63
	v_mul_f64 v[19:20], v[19:20], s[14:15]
	s_or_b64 s[18:19], vcc, s[18:19]
	v_fma_f64 v[55:56], v[27:28], v[19:20], v[55:56]
	v_fma_f64 v[57:58], v[19:20], v[98:99], v[57:58]
	;; [unrolled: 1-line block ×4, first 2 shown]
	v_mov_b32_e32 v19, v64
	v_mov_b32_e32 v23, v66
	;; [unrolled: 1-line block ×6, first 2 shown]
	s_andn2_b64 exec, exec, s[18:19]
	s_cbranch_execnz .LBB0_284
; %bb.285:                              ;   in Loop: Header=BB0_130 Depth=1
	s_or_b64 exec, exec, s[18:19]
	v_fma_f64 v[9:10], v[3:4], v[55:56], v[9:10]
	v_fma_f64 v[11:12], v[3:4], v[57:58], v[11:12]
	;; [unrolled: 1-line block ×4, first 2 shown]
	s_branch .LBB0_129
.LBB0_286:
	s_or_b64 exec, exec, s[10:11]
.LBB0_287:
	s_or_b64 exec, exec, s[8:9]
	buffer_load_dword v17, off, s[0:3], 0 offset:4
	s_mov_b32 s6, 0xc0c0004
	v_lshlrev_b16_e32 v18, 8, v82
	v_lshlrev_b16_e32 v19, 8, v81
	v_or_b32_sdwa v18, v41, v18 dst_sel:DWORD dst_unused:UNUSED_PAD src0_sel:BYTE_0 src1_sel:DWORD
	v_or_b32_sdwa v19, v43, v19 dst_sel:DWORD dst_unused:UNUSED_PAD src0_sel:BYTE_0 src1_sel:DWORD
	v_perm_b32 v43, v46, v79, s6
	v_perm_b32 v46, v77, v49, s6
	v_lshlrev_b16_e32 v20, 8, v80
	v_perm_b32 v25, v42, v74, s6
	v_perm_b32 v27, v71, v47, s6
	;; [unrolled: 1-line block ×4, first 2 shown]
	v_and_b32_e32 v48, 0xffff, v18
	v_lshlrev_b32_e32 v46, 16, v46
	v_lshrrev_b32_e32 v54, 8, v27
	v_lshl_or_b32 v27, v27, 16, v48
	v_or_b32_e32 v45, v45, v46
	v_or_b32_e32 v20, v20, v46
	v_lshrrev_b32_e32 v46, 8, v48
	v_perm_b32 v26, v69, v68, s6
	v_perm_b32 v28, v44, v78, s6
	;; [unrolled: 1-line block ×4, first 2 shown]
	v_lshl_or_b32 v47, v26, 16, v25
	v_lshrrev_b32_e32 v53, 8, v25
	v_and_b32_e32 v24, 0xff, v69
	v_lshrrev_b32_e32 v26, 8, v26
	v_and_b32_e32 v23, 0xff, v71
	v_and_b32_e32 v22, 0xff, v72
	v_lshl_or_b32 v49, v41, 16, v28
	v_lshrrev_b32_e32 v41, 8, v41
	v_lshrrev_b32_e32 v52, 8, v28
	v_and_b32_e32 v50, 0xffff, v19
	v_and_b32_e32 v21, 0xff, v75
	v_lshlrev_b32_e32 v51, 16, v44
	v_or_b32_e32 v51, v43, v51
	v_lshl_or_b32 v55, v42, 16, v50
	s_waitcnt vmcnt(0)
	v_and_b32_e32 v48, 1, v17
	v_cmp_ne_u32_e64 s[6:7], 20, v48
	v_cmp_eq_u32_e32 vcc, 0, v48
	v_cndmask_b32_e64 v25, 1, v25, s[6:7]
	v_cmp_ne_u32_e64 s[6:7], 21, v48
	v_cndmask_b32_e32 v20, v20, v45, vcc
	v_cndmask_b32_e64 v45, 1, v53, s[6:7]
	v_cmp_ne_u32_e64 s[6:7], 22, v48
	v_cndmask_b32_e64 v24, 1, v24, s[6:7]
	v_cmp_ne_u32_e64 s[6:7], 23, v48
	;; [unrolled: 2-line block ×6, first 2 shown]
	v_cndmask_b32_e64 v53, 1, v54, s[6:7]
	v_cndmask_b32_e64 v54, v20, 1, vcc
	v_lshrrev_b32_e32 v57, 8, v20
	v_cmp_eq_u32_e32 vcc, 1, v48
	v_lshrrev_b32_e32 v58, 24, v20
	v_cndmask_b32_e64 v57, v57, 1, vcc
	v_cmp_ne_u32_e32 vcc, 3, v48
	v_lshrrev_b32_e32 v59, 16, v20
	v_cndmask_b32_e32 v58, 1, v58, vcc
	v_cmp_ne_u32_e32 vcc, 2, v48
	v_cmp_ne_u32_e64 s[6:7], 12, v48
	v_lshlrev_b16_e32 v45, 8, v45
	v_lshlrev_b16_e32 v26, 8, v26
	;; [unrolled: 1-line block ×4, first 2 shown]
	v_cndmask_b32_e32 v59, 1, v59, vcc
	v_cmp_ne_u32_e32 vcc, 14, v48
	v_cndmask_b32_e64 v28, 1, v28, s[6:7]
	v_cmp_ne_u32_e64 s[6:7], 13, v48
	v_or_b32_sdwa v25, v25, v45 dst_sel:DWORD dst_unused:UNUSED_PAD src0_sel:BYTE_0 src1_sel:DWORD
	v_or_b32_sdwa v24, v24, v26 dst_sel:WORD_1 dst_unused:UNUSED_PAD src0_sel:DWORD src1_sel:DWORD
	v_or_b32_sdwa v18, v18, v46 dst_sel:DWORD dst_unused:UNUSED_PAD src0_sel:BYTE_0 src1_sel:DWORD
	v_or_b32_sdwa v23, v23, v53 dst_sel:WORD_1 dst_unused:UNUSED_PAD src0_sel:DWORD src1_sel:DWORD
	v_lshlrev_b16_e32 v26, 8, v57
	v_lshlrev_b16_e32 v45, 8, v58
	v_cndmask_b32_e32 v22, 1, v22, vcc
	v_cmp_ne_u32_e32 vcc, 15, v48
	v_cndmask_b32_e64 v52, 1, v52, s[6:7]
	v_or_b32_sdwa v24, v25, v24 dst_sel:DWORD dst_unused:UNUSED_PAD src0_sel:WORD_0 src1_sel:DWORD
	v_or_b32_sdwa v18, v18, v23 dst_sel:DWORD dst_unused:UNUSED_PAD src0_sel:WORD_0 src1_sel:DWORD
	v_or_b32_sdwa v23, v54, v26 dst_sel:DWORD dst_unused:UNUSED_PAD src0_sel:BYTE_0 src1_sel:DWORD
	v_or_b32_sdwa v25, v59, v45 dst_sel:WORD_1 dst_unused:UNUSED_PAD src0_sel:BYTE_0 src1_sel:DWORD
	v_cndmask_b32_e32 v26, 1, v41, vcc
	v_or_b32_sdwa v23, v23, v25 dst_sel:DWORD dst_unused:UNUSED_PAD src0_sel:WORD_0 src1_sel:DWORD
	v_lshlrev_b16_e32 v25, 8, v52
	v_lshlrev_b16_e32 v26, 8, v26
	v_or_b32_sdwa v25, v28, v25 dst_sel:DWORD dst_unused:UNUSED_PAD src0_sel:BYTE_0 src1_sel:DWORD
	v_or_b32_sdwa v22, v22, v26 dst_sel:WORD_1 dst_unused:UNUSED_PAD src0_sel:DWORD src1_sel:DWORD
	v_cmp_ne_u32_e32 vcc, 8, v48
	v_or_b32_sdwa v22, v25, v22 dst_sel:DWORD dst_unused:UNUSED_PAD src0_sel:WORD_0 src1_sel:DWORD
	v_cndmask_b32_e32 v19, 1, v19, vcc
	v_lshrrev_b32_e32 v25, 8, v50
	v_cmp_ne_u32_e32 vcc, 9, v48
	v_cndmask_b32_e32 v25, 1, v25, vcc
	v_lshlrev_b16_e32 v25, 8, v25
	v_cmp_ne_u32_e32 vcc, 10, v48
	v_or_b32_sdwa v19, v19, v25 dst_sel:DWORD dst_unused:UNUSED_PAD src0_sel:BYTE_0 src1_sel:DWORD
	v_cndmask_b32_e32 v21, 1, v21, vcc
	v_lshrrev_b32_e32 v25, 8, v42
	v_cmp_ne_u32_e32 vcc, 11, v48
	v_cndmask_b32_e32 v25, 1, v25, vcc
	v_lshlrev_b16_e32 v25, 8, v25
	v_or_b32_sdwa v21, v21, v25 dst_sel:WORD_1 dst_unused:UNUSED_PAD src0_sel:DWORD src1_sel:DWORD
	v_or_b32_sdwa v19, v19, v21 dst_sel:DWORD dst_unused:UNUSED_PAD src0_sel:WORD_0 src1_sel:DWORD
	v_lshrrev_b32_e32 v21, 8, v51
	v_cmp_ne_u32_e32 vcc, 5, v48
	v_cndmask_b32_e32 v21, 1, v21, vcc
	v_cmp_ne_u32_e32 vcc, 4, v48
	v_lshlrev_b16_e32 v21, 8, v21
	v_cndmask_b32_e32 v25, 1, v43, vcc
	v_cmp_ne_u32_e32 vcc, 6, v48
	v_or_b32_sdwa v21, v25, v21 dst_sel:DWORD dst_unused:UNUSED_PAD src0_sel:BYTE_0 src1_sel:DWORD
	v_cndmask_b32_e32 v25, 1, v44, vcc
	v_bfe_u32 v26, v44, 8, 8
	v_cmp_ne_u32_e32 vcc, 7, v48
	v_and_b32_e32 v56, 2, v17
	v_cndmask_b32_e32 v26, 1, v26, vcc
	v_lshlrev_b16_e32 v26, 8, v26
	v_cmp_eq_u32_e32 vcc, 0, v56
	v_or_b32_sdwa v25, v25, v26 dst_sel:WORD_1 dst_unused:UNUSED_PAD src0_sel:BYTE_0 src1_sel:DWORD
	v_cndmask_b32_e32 v20, v23, v20, vcc
	v_cndmask_b32_e32 v23, v24, v47, vcc
	v_bfe_u32 v24, v17, 1, 1
	v_or_b32_sdwa v21, v21, v25 dst_sel:DWORD dst_unused:UNUSED_PAD src0_sel:WORD_0 src1_sel:DWORD
	v_add_u32_e32 v24, v24, v48
	v_cndmask_b32_e32 v21, v21, v51, vcc
	v_cndmask_b32_e32 v19, v19, v55, vcc
	;; [unrolled: 1-line block ×4, first 2 shown]
	v_cmp_ne_u32_e32 vcc, 0, v24
	v_cndmask_b32_e32 v26, 2, v20, vcc
	v_lshrrev_b32_e32 v27, 8, v20
	v_cmp_ne_u32_e32 vcc, 1, v24
	v_cndmask_b32_e32 v27, 2, v27, vcc
	v_lshlrev_b16_e32 v27, 8, v27
	v_or_b32_sdwa v26, v26, v27 dst_sel:DWORD dst_unused:UNUSED_PAD src0_sel:BYTE_0 src1_sel:DWORD
	v_lshrrev_b32_e32 v27, 24, v20
	v_cmp_ne_u32_e32 vcc, 3, v24
	v_cndmask_b32_e32 v27, 2, v27, vcc
	v_lshrrev_b32_e32 v28, 16, v20
	v_cmp_ne_u32_e32 vcc, 2, v24
	v_lshlrev_b16_e32 v27, 8, v27
	v_cndmask_b32_e32 v28, 2, v28, vcc
	v_or_b32_sdwa v27, v28, v27 dst_sel:WORD_1 dst_unused:UNUSED_PAD src0_sel:BYTE_0 src1_sel:DWORD
	v_cmp_ne_u32_e32 vcc, 20, v24
	v_or_b32_sdwa v26, v26, v27 dst_sel:DWORD dst_unused:UNUSED_PAD src0_sel:WORD_0 src1_sel:DWORD
	v_cndmask_b32_e32 v27, 2, v23, vcc
	v_lshrrev_b32_e32 v28, 8, v23
	v_cmp_ne_u32_e32 vcc, 21, v24
	v_cndmask_b32_e32 v28, 2, v28, vcc
	v_lshlrev_b16_e32 v28, 8, v28
	v_or_b32_sdwa v27, v27, v28 dst_sel:DWORD dst_unused:UNUSED_PAD src0_sel:BYTE_0 src1_sel:DWORD
	v_lshrrev_b32_e32 v28, 24, v23
	v_cmp_ne_u32_e32 vcc, 23, v24
	v_cndmask_b32_e32 v28, 2, v28, vcc
	v_lshrrev_b32_e32 v41, 16, v23
	v_cmp_ne_u32_e32 vcc, 22, v24
	v_lshlrev_b16_e32 v28, 8, v28
	v_cndmask_b32_e32 v41, 2, v41, vcc
	v_or_b32_sdwa v28, v41, v28 dst_sel:WORD_1 dst_unused:UNUSED_PAD src0_sel:BYTE_0 src1_sel:DWORD
	v_cmp_ne_u32_e32 vcc, 16, v24
	v_or_b32_sdwa v27, v27, v28 dst_sel:DWORD dst_unused:UNUSED_PAD src0_sel:WORD_0 src1_sel:DWORD
	v_cndmask_b32_e32 v28, 2, v18, vcc
	v_lshrrev_b32_e32 v41, 8, v18
	v_cmp_ne_u32_e32 vcc, 17, v24
	v_cndmask_b32_e32 v41, 2, v41, vcc
	v_lshlrev_b16_e32 v41, 8, v41
	v_or_b32_sdwa v28, v28, v41 dst_sel:DWORD dst_unused:UNUSED_PAD src0_sel:BYTE_0 src1_sel:DWORD
	v_lshrrev_b32_e32 v41, 24, v18
	v_cmp_ne_u32_e32 vcc, 19, v24
	v_cndmask_b32_e32 v41, 2, v41, vcc
	v_lshrrev_b32_e32 v42, 16, v18
	v_cmp_ne_u32_e32 vcc, 18, v24
	v_lshlrev_b16_e32 v41, 8, v41
	v_cndmask_b32_e32 v42, 2, v42, vcc
	v_or_b32_sdwa v41, v42, v41 dst_sel:WORD_1 dst_unused:UNUSED_PAD src0_sel:BYTE_0 src1_sel:DWORD
	v_cmp_ne_u32_e32 vcc, 12, v24
	v_or_b32_sdwa v28, v28, v41 dst_sel:DWORD dst_unused:UNUSED_PAD src0_sel:WORD_0 src1_sel:DWORD
	v_cndmask_b32_e32 v41, 2, v22, vcc
	v_lshrrev_b32_e32 v42, 8, v22
	v_cmp_ne_u32_e32 vcc, 13, v24
	v_cndmask_b32_e32 v42, 2, v42, vcc
	v_lshlrev_b16_e32 v42, 8, v42
	v_or_b32_sdwa v41, v41, v42 dst_sel:DWORD dst_unused:UNUSED_PAD src0_sel:BYTE_0 src1_sel:DWORD
	v_lshrrev_b32_e32 v42, 24, v22
	v_cmp_ne_u32_e32 vcc, 15, v24
	v_cndmask_b32_e32 v42, 2, v42, vcc
	v_lshrrev_b32_e32 v43, 16, v22
	v_cmp_ne_u32_e32 vcc, 14, v24
	v_lshlrev_b16_e32 v42, 8, v42
	v_cndmask_b32_e32 v43, 2, v43, vcc
	v_or_b32_sdwa v42, v43, v42 dst_sel:WORD_1 dst_unused:UNUSED_PAD src0_sel:BYTE_0 src1_sel:DWORD
	v_cmp_ne_u32_e32 vcc, 8, v24
	v_or_b32_sdwa v41, v41, v42 dst_sel:DWORD dst_unused:UNUSED_PAD src0_sel:WORD_0 src1_sel:DWORD
	v_cndmask_b32_e32 v42, 2, v19, vcc
	v_lshrrev_b32_e32 v43, 8, v19
	v_cmp_ne_u32_e32 vcc, 9, v24
	v_cndmask_b32_e32 v43, 2, v43, vcc
	v_lshlrev_b16_e32 v43, 8, v43
	v_or_b32_sdwa v42, v42, v43 dst_sel:DWORD dst_unused:UNUSED_PAD src0_sel:BYTE_0 src1_sel:DWORD
	v_lshrrev_b32_e32 v43, 24, v19
	v_cmp_ne_u32_e32 vcc, 11, v24
	v_cndmask_b32_e32 v43, 2, v43, vcc
	v_lshrrev_b32_e32 v44, 16, v19
	v_cmp_ne_u32_e32 vcc, 10, v24
	v_lshlrev_b16_e32 v43, 8, v43
	v_cndmask_b32_e32 v44, 2, v44, vcc
	v_or_b32_sdwa v43, v44, v43 dst_sel:WORD_1 dst_unused:UNUSED_PAD src0_sel:BYTE_0 src1_sel:DWORD
	v_cmp_ne_u32_e32 vcc, 4, v24
	v_or_b32_sdwa v42, v42, v43 dst_sel:DWORD dst_unused:UNUSED_PAD src0_sel:WORD_0 src1_sel:DWORD
	v_cndmask_b32_e32 v43, 2, v21, vcc
	v_lshrrev_b32_e32 v44, 8, v21
	v_cmp_ne_u32_e32 vcc, 5, v24
	v_cndmask_b32_e32 v44, 2, v44, vcc
	v_lshlrev_b16_e32 v44, 8, v44
	v_or_b32_sdwa v43, v43, v44 dst_sel:DWORD dst_unused:UNUSED_PAD src0_sel:BYTE_0 src1_sel:DWORD
	v_lshrrev_b32_e32 v44, 24, v21
	v_cmp_ne_u32_e32 vcc, 7, v24
	v_cndmask_b32_e32 v44, 2, v44, vcc
	v_lshrrev_b32_e32 v45, 16, v21
	v_cmp_ne_u32_e32 vcc, 6, v24
	v_and_b32_e32 v25, 4, v17
	v_lshlrev_b16_e32 v44, 8, v44
	v_cndmask_b32_e32 v45, 2, v45, vcc
	v_or_b32_sdwa v44, v45, v44 dst_sel:WORD_1 dst_unused:UNUSED_PAD src0_sel:BYTE_0 src1_sel:DWORD
	v_cmp_eq_u32_e32 vcc, 0, v25
	v_bfe_u32 v25, v17, 2, 1
	v_or_b32_sdwa v43, v43, v44 dst_sel:DWORD dst_unused:UNUSED_PAD src0_sel:WORD_0 src1_sel:DWORD
	v_add_u32_e32 v24, v24, v25
	v_cndmask_b32_e32 v20, v26, v20, vcc
	v_cndmask_b32_e32 v21, v43, v21, vcc
	;; [unrolled: 1-line block ×6, first 2 shown]
	v_cmp_ne_u32_e32 vcc, 0, v24
	v_cndmask_b32_e32 v26, 3, v20, vcc
	v_lshrrev_b32_e32 v27, 8, v20
	v_cmp_ne_u32_e32 vcc, 1, v24
	v_cndmask_b32_e32 v27, 3, v27, vcc
	v_lshlrev_b16_e32 v27, 8, v27
	v_or_b32_sdwa v26, v26, v27 dst_sel:DWORD dst_unused:UNUSED_PAD src0_sel:BYTE_0 src1_sel:DWORD
	v_lshrrev_b32_e32 v27, 24, v20
	v_cmp_ne_u32_e32 vcc, 3, v24
	v_cndmask_b32_e32 v27, 3, v27, vcc
	v_lshrrev_b32_e32 v28, 16, v20
	v_cmp_ne_u32_e32 vcc, 2, v24
	v_lshlrev_b16_e32 v27, 8, v27
	v_cndmask_b32_e32 v28, 3, v28, vcc
	v_or_b32_sdwa v27, v28, v27 dst_sel:WORD_1 dst_unused:UNUSED_PAD src0_sel:BYTE_0 src1_sel:DWORD
	v_cmp_ne_u32_e32 vcc, 20, v24
	v_or_b32_sdwa v26, v26, v27 dst_sel:DWORD dst_unused:UNUSED_PAD src0_sel:WORD_0 src1_sel:DWORD
	v_cndmask_b32_e32 v27, 3, v23, vcc
	v_lshrrev_b32_e32 v28, 8, v23
	v_cmp_ne_u32_e32 vcc, 21, v24
	v_cndmask_b32_e32 v28, 3, v28, vcc
	v_lshlrev_b16_e32 v28, 8, v28
	v_or_b32_sdwa v27, v27, v28 dst_sel:DWORD dst_unused:UNUSED_PAD src0_sel:BYTE_0 src1_sel:DWORD
	v_lshrrev_b32_e32 v28, 24, v23
	v_cmp_ne_u32_e32 vcc, 23, v24
	v_cndmask_b32_e32 v28, 3, v28, vcc
	v_lshrrev_b32_e32 v41, 16, v23
	v_cmp_ne_u32_e32 vcc, 22, v24
	v_lshlrev_b16_e32 v28, 8, v28
	v_cndmask_b32_e32 v41, 3, v41, vcc
	v_or_b32_sdwa v28, v41, v28 dst_sel:WORD_1 dst_unused:UNUSED_PAD src0_sel:BYTE_0 src1_sel:DWORD
	v_cmp_ne_u32_e32 vcc, 16, v24
	v_or_b32_sdwa v27, v27, v28 dst_sel:DWORD dst_unused:UNUSED_PAD src0_sel:WORD_0 src1_sel:DWORD
	;; [unrolled: 16-line block ×5, first 2 shown]
	v_cndmask_b32_e32 v43, 3, v21, vcc
	v_lshrrev_b32_e32 v44, 8, v21
	v_cmp_ne_u32_e32 vcc, 5, v24
	v_cndmask_b32_e32 v44, 3, v44, vcc
	v_lshlrev_b16_e32 v44, 8, v44
	v_or_b32_sdwa v43, v43, v44 dst_sel:DWORD dst_unused:UNUSED_PAD src0_sel:BYTE_0 src1_sel:DWORD
	v_lshrrev_b32_e32 v44, 24, v21
	v_cmp_ne_u32_e32 vcc, 7, v24
	v_cndmask_b32_e32 v44, 3, v44, vcc
	v_lshrrev_b32_e32 v45, 16, v21
	v_cmp_ne_u32_e32 vcc, 6, v24
	v_and_b32_e32 v25, 8, v17
	v_lshlrev_b16_e32 v44, 8, v44
	v_cndmask_b32_e32 v45, 3, v45, vcc
	v_or_b32_sdwa v44, v45, v44 dst_sel:WORD_1 dst_unused:UNUSED_PAD src0_sel:BYTE_0 src1_sel:DWORD
	v_cmp_eq_u32_e32 vcc, 0, v25
	v_bfe_u32 v25, v17, 3, 1
	v_or_b32_sdwa v43, v43, v44 dst_sel:DWORD dst_unused:UNUSED_PAD src0_sel:WORD_0 src1_sel:DWORD
	v_add_u32_e32 v24, v24, v25
	v_cndmask_b32_e32 v20, v26, v20, vcc
	v_cndmask_b32_e32 v21, v43, v21, vcc
	;; [unrolled: 1-line block ×6, first 2 shown]
	v_cmp_ne_u32_e32 vcc, 0, v24
	v_cndmask_b32_e32 v26, 4, v20, vcc
	v_lshrrev_b32_e32 v27, 8, v20
	v_cmp_ne_u32_e32 vcc, 1, v24
	v_cndmask_b32_e32 v27, 4, v27, vcc
	v_lshlrev_b16_e32 v27, 8, v27
	v_or_b32_sdwa v26, v26, v27 dst_sel:DWORD dst_unused:UNUSED_PAD src0_sel:BYTE_0 src1_sel:DWORD
	v_lshrrev_b32_e32 v27, 24, v20
	v_cmp_ne_u32_e32 vcc, 3, v24
	v_cndmask_b32_e32 v27, 4, v27, vcc
	v_lshrrev_b32_e32 v28, 16, v20
	v_cmp_ne_u32_e32 vcc, 2, v24
	v_lshlrev_b16_e32 v27, 8, v27
	v_cndmask_b32_e32 v28, 4, v28, vcc
	v_or_b32_sdwa v27, v28, v27 dst_sel:WORD_1 dst_unused:UNUSED_PAD src0_sel:BYTE_0 src1_sel:DWORD
	v_cmp_ne_u32_e32 vcc, 20, v24
	v_or_b32_sdwa v26, v26, v27 dst_sel:DWORD dst_unused:UNUSED_PAD src0_sel:WORD_0 src1_sel:DWORD
	v_cndmask_b32_e32 v27, 4, v23, vcc
	v_lshrrev_b32_e32 v28, 8, v23
	v_cmp_ne_u32_e32 vcc, 21, v24
	v_cndmask_b32_e32 v28, 4, v28, vcc
	v_lshlrev_b16_e32 v28, 8, v28
	v_or_b32_sdwa v27, v27, v28 dst_sel:DWORD dst_unused:UNUSED_PAD src0_sel:BYTE_0 src1_sel:DWORD
	v_lshrrev_b32_e32 v28, 24, v23
	v_cmp_ne_u32_e32 vcc, 23, v24
	v_cndmask_b32_e32 v28, 4, v28, vcc
	v_lshrrev_b32_e32 v41, 16, v23
	v_cmp_ne_u32_e32 vcc, 22, v24
	v_lshlrev_b16_e32 v28, 8, v28
	v_cndmask_b32_e32 v41, 4, v41, vcc
	v_or_b32_sdwa v28, v41, v28 dst_sel:WORD_1 dst_unused:UNUSED_PAD src0_sel:BYTE_0 src1_sel:DWORD
	v_cmp_ne_u32_e32 vcc, 16, v24
	v_or_b32_sdwa v27, v27, v28 dst_sel:DWORD dst_unused:UNUSED_PAD src0_sel:WORD_0 src1_sel:DWORD
	;; [unrolled: 16-line block ×5, first 2 shown]
	v_cndmask_b32_e32 v43, 4, v21, vcc
	v_lshrrev_b32_e32 v44, 8, v21
	v_cmp_ne_u32_e32 vcc, 5, v24
	v_cndmask_b32_e32 v44, 4, v44, vcc
	v_lshlrev_b16_e32 v44, 8, v44
	v_or_b32_sdwa v43, v43, v44 dst_sel:DWORD dst_unused:UNUSED_PAD src0_sel:BYTE_0 src1_sel:DWORD
	v_lshrrev_b32_e32 v44, 24, v21
	v_cmp_ne_u32_e32 vcc, 7, v24
	v_cndmask_b32_e32 v44, 4, v44, vcc
	v_lshrrev_b32_e32 v45, 16, v21
	v_cmp_ne_u32_e32 vcc, 6, v24
	v_and_b32_e32 v25, 16, v17
	v_lshlrev_b16_e32 v44, 8, v44
	v_cndmask_b32_e32 v45, 4, v45, vcc
	v_or_b32_sdwa v44, v45, v44 dst_sel:WORD_1 dst_unused:UNUSED_PAD src0_sel:BYTE_0 src1_sel:DWORD
	v_cmp_eq_u32_e32 vcc, 0, v25
	v_bfe_u32 v25, v17, 4, 1
	v_or_b32_sdwa v43, v43, v44 dst_sel:DWORD dst_unused:UNUSED_PAD src0_sel:WORD_0 src1_sel:DWORD
	v_add_u32_e32 v24, v24, v25
	v_cndmask_b32_e32 v20, v26, v20, vcc
	v_cndmask_b32_e32 v21, v43, v21, vcc
	;; [unrolled: 1-line block ×6, first 2 shown]
	v_cmp_ne_u32_e32 vcc, 0, v24
	v_cndmask_b32_e32 v26, 5, v20, vcc
	v_lshrrev_b32_e32 v27, 8, v20
	v_cmp_ne_u32_e32 vcc, 1, v24
	v_cndmask_b32_e32 v27, 5, v27, vcc
	v_lshlrev_b16_e32 v27, 8, v27
	v_or_b32_sdwa v26, v26, v27 dst_sel:DWORD dst_unused:UNUSED_PAD src0_sel:BYTE_0 src1_sel:DWORD
	v_lshrrev_b32_e32 v27, 24, v20
	v_cmp_ne_u32_e32 vcc, 3, v24
	v_cndmask_b32_e32 v27, 5, v27, vcc
	v_lshrrev_b32_e32 v28, 16, v20
	v_cmp_ne_u32_e32 vcc, 2, v24
	v_lshlrev_b16_e32 v27, 8, v27
	v_cndmask_b32_e32 v28, 5, v28, vcc
	v_or_b32_sdwa v27, v28, v27 dst_sel:WORD_1 dst_unused:UNUSED_PAD src0_sel:BYTE_0 src1_sel:DWORD
	v_cmp_ne_u32_e32 vcc, 20, v24
	v_or_b32_sdwa v26, v26, v27 dst_sel:DWORD dst_unused:UNUSED_PAD src0_sel:WORD_0 src1_sel:DWORD
	v_cndmask_b32_e32 v27, 5, v23, vcc
	v_lshrrev_b32_e32 v28, 8, v23
	v_cmp_ne_u32_e32 vcc, 21, v24
	v_cndmask_b32_e32 v28, 5, v28, vcc
	v_lshlrev_b16_e32 v28, 8, v28
	v_or_b32_sdwa v27, v27, v28 dst_sel:DWORD dst_unused:UNUSED_PAD src0_sel:BYTE_0 src1_sel:DWORD
	v_lshrrev_b32_e32 v28, 24, v23
	v_cmp_ne_u32_e32 vcc, 23, v24
	v_cndmask_b32_e32 v28, 5, v28, vcc
	v_lshrrev_b32_e32 v41, 16, v23
	v_cmp_ne_u32_e32 vcc, 22, v24
	v_lshlrev_b16_e32 v28, 8, v28
	v_cndmask_b32_e32 v41, 5, v41, vcc
	v_or_b32_sdwa v28, v41, v28 dst_sel:WORD_1 dst_unused:UNUSED_PAD src0_sel:BYTE_0 src1_sel:DWORD
	v_cmp_ne_u32_e32 vcc, 16, v24
	v_or_b32_sdwa v27, v27, v28 dst_sel:DWORD dst_unused:UNUSED_PAD src0_sel:WORD_0 src1_sel:DWORD
	;; [unrolled: 16-line block ×5, first 2 shown]
	v_cndmask_b32_e32 v43, 5, v21, vcc
	v_lshrrev_b32_e32 v44, 8, v21
	v_cmp_ne_u32_e32 vcc, 5, v24
	v_cndmask_b32_e32 v44, 5, v44, vcc
	v_lshlrev_b16_e32 v44, 8, v44
	v_or_b32_sdwa v43, v43, v44 dst_sel:DWORD dst_unused:UNUSED_PAD src0_sel:BYTE_0 src1_sel:DWORD
	v_lshrrev_b32_e32 v44, 24, v21
	v_cmp_ne_u32_e32 vcc, 7, v24
	v_cndmask_b32_e32 v44, 5, v44, vcc
	v_lshrrev_b32_e32 v45, 16, v21
	v_cmp_ne_u32_e32 vcc, 6, v24
	v_and_b32_e32 v25, 32, v17
	v_lshlrev_b16_e32 v44, 8, v44
	v_cndmask_b32_e32 v45, 5, v45, vcc
	v_or_b32_sdwa v44, v45, v44 dst_sel:WORD_1 dst_unused:UNUSED_PAD src0_sel:BYTE_0 src1_sel:DWORD
	v_cmp_eq_u32_e32 vcc, 0, v25
	v_bfe_u32 v25, v17, 5, 1
	v_or_b32_sdwa v43, v43, v44 dst_sel:DWORD dst_unused:UNUSED_PAD src0_sel:WORD_0 src1_sel:DWORD
	v_add_u32_e32 v24, v24, v25
	v_cndmask_b32_e32 v20, v26, v20, vcc
	v_cndmask_b32_e32 v21, v43, v21, vcc
	;; [unrolled: 1-line block ×6, first 2 shown]
	v_cmp_ne_u32_e32 vcc, 0, v24
	v_cndmask_b32_e32 v26, 6, v20, vcc
	v_lshrrev_b32_e32 v27, 8, v20
	v_cmp_ne_u32_e32 vcc, 1, v24
	v_cndmask_b32_e32 v27, 6, v27, vcc
	v_lshlrev_b16_e32 v27, 8, v27
	v_or_b32_sdwa v26, v26, v27 dst_sel:DWORD dst_unused:UNUSED_PAD src0_sel:BYTE_0 src1_sel:DWORD
	v_lshrrev_b32_e32 v27, 24, v20
	v_cmp_ne_u32_e32 vcc, 3, v24
	v_cndmask_b32_e32 v27, 6, v27, vcc
	v_lshrrev_b32_e32 v28, 16, v20
	v_cmp_ne_u32_e32 vcc, 2, v24
	v_lshlrev_b16_e32 v27, 8, v27
	v_cndmask_b32_e32 v28, 6, v28, vcc
	v_or_b32_sdwa v27, v28, v27 dst_sel:WORD_1 dst_unused:UNUSED_PAD src0_sel:BYTE_0 src1_sel:DWORD
	v_cmp_ne_u32_e32 vcc, 20, v24
	v_or_b32_sdwa v26, v26, v27 dst_sel:DWORD dst_unused:UNUSED_PAD src0_sel:WORD_0 src1_sel:DWORD
	v_cndmask_b32_e32 v27, 6, v23, vcc
	v_lshrrev_b32_e32 v28, 8, v23
	v_cmp_ne_u32_e32 vcc, 21, v24
	v_cndmask_b32_e32 v28, 6, v28, vcc
	v_lshlrev_b16_e32 v28, 8, v28
	v_or_b32_sdwa v27, v27, v28 dst_sel:DWORD dst_unused:UNUSED_PAD src0_sel:BYTE_0 src1_sel:DWORD
	v_lshrrev_b32_e32 v28, 24, v23
	v_cmp_ne_u32_e32 vcc, 23, v24
	v_cndmask_b32_e32 v28, 6, v28, vcc
	v_lshrrev_b32_e32 v41, 16, v23
	v_cmp_ne_u32_e32 vcc, 22, v24
	v_lshlrev_b16_e32 v28, 8, v28
	v_cndmask_b32_e32 v41, 6, v41, vcc
	v_or_b32_sdwa v28, v41, v28 dst_sel:WORD_1 dst_unused:UNUSED_PAD src0_sel:BYTE_0 src1_sel:DWORD
	v_cmp_ne_u32_e32 vcc, 16, v24
	v_or_b32_sdwa v27, v27, v28 dst_sel:DWORD dst_unused:UNUSED_PAD src0_sel:WORD_0 src1_sel:DWORD
	;; [unrolled: 16-line block ×5, first 2 shown]
	v_cndmask_b32_e32 v43, 6, v21, vcc
	v_lshrrev_b32_e32 v44, 8, v21
	v_cmp_ne_u32_e32 vcc, 5, v24
	v_cndmask_b32_e32 v44, 6, v44, vcc
	v_lshlrev_b16_e32 v44, 8, v44
	v_or_b32_sdwa v43, v43, v44 dst_sel:DWORD dst_unused:UNUSED_PAD src0_sel:BYTE_0 src1_sel:DWORD
	v_lshrrev_b32_e32 v44, 24, v21
	v_cmp_ne_u32_e32 vcc, 7, v24
	v_cndmask_b32_e32 v44, 6, v44, vcc
	v_lshrrev_b32_e32 v45, 16, v21
	v_cmp_ne_u32_e32 vcc, 6, v24
	v_and_b32_e32 v25, 64, v17
	v_lshlrev_b16_e32 v44, 8, v44
	v_cndmask_b32_e32 v45, 6, v45, vcc
	v_or_b32_sdwa v44, v45, v44 dst_sel:WORD_1 dst_unused:UNUSED_PAD src0_sel:BYTE_0 src1_sel:DWORD
	v_cmp_eq_u32_e32 vcc, 0, v25
	v_bfe_u32 v25, v17, 6, 1
	v_or_b32_sdwa v43, v43, v44 dst_sel:DWORD dst_unused:UNUSED_PAD src0_sel:WORD_0 src1_sel:DWORD
	v_add_u32_e32 v24, v24, v25
	v_cndmask_b32_e32 v20, v26, v20, vcc
	v_cndmask_b32_e32 v21, v43, v21, vcc
	;; [unrolled: 1-line block ×6, first 2 shown]
	v_cmp_ne_u32_e32 vcc, 0, v24
	v_cndmask_b32_e32 v26, 7, v20, vcc
	v_lshrrev_b32_e32 v27, 8, v20
	v_cmp_ne_u32_e32 vcc, 1, v24
	v_cndmask_b32_e32 v27, 7, v27, vcc
	v_lshlrev_b16_e32 v27, 8, v27
	v_or_b32_sdwa v26, v26, v27 dst_sel:DWORD dst_unused:UNUSED_PAD src0_sel:BYTE_0 src1_sel:DWORD
	v_lshrrev_b32_e32 v27, 24, v20
	v_cmp_ne_u32_e32 vcc, 3, v24
	v_cndmask_b32_e32 v27, 7, v27, vcc
	v_lshrrev_b32_e32 v28, 16, v20
	v_cmp_ne_u32_e32 vcc, 2, v24
	v_lshlrev_b16_e32 v27, 8, v27
	v_cndmask_b32_e32 v28, 7, v28, vcc
	v_or_b32_sdwa v27, v28, v27 dst_sel:WORD_1 dst_unused:UNUSED_PAD src0_sel:BYTE_0 src1_sel:DWORD
	v_cmp_ne_u32_e32 vcc, 20, v24
	v_or_b32_sdwa v26, v26, v27 dst_sel:DWORD dst_unused:UNUSED_PAD src0_sel:WORD_0 src1_sel:DWORD
	v_cndmask_b32_e32 v27, 7, v23, vcc
	v_lshrrev_b32_e32 v28, 8, v23
	v_cmp_ne_u32_e32 vcc, 21, v24
	v_cndmask_b32_e32 v28, 7, v28, vcc
	v_lshlrev_b16_e32 v28, 8, v28
	v_or_b32_sdwa v27, v27, v28 dst_sel:DWORD dst_unused:UNUSED_PAD src0_sel:BYTE_0 src1_sel:DWORD
	v_lshrrev_b32_e32 v28, 24, v23
	v_cmp_ne_u32_e32 vcc, 23, v24
	v_cndmask_b32_e32 v28, 7, v28, vcc
	v_lshrrev_b32_e32 v41, 16, v23
	v_cmp_ne_u32_e32 vcc, 22, v24
	v_lshlrev_b16_e32 v28, 8, v28
	v_cndmask_b32_e32 v41, 7, v41, vcc
	v_or_b32_sdwa v28, v41, v28 dst_sel:WORD_1 dst_unused:UNUSED_PAD src0_sel:BYTE_0 src1_sel:DWORD
	v_cmp_ne_u32_e32 vcc, 16, v24
	v_or_b32_sdwa v27, v27, v28 dst_sel:DWORD dst_unused:UNUSED_PAD src0_sel:WORD_0 src1_sel:DWORD
	;; [unrolled: 16-line block ×5, first 2 shown]
	v_cndmask_b32_e32 v43, 7, v21, vcc
	v_lshrrev_b32_e32 v44, 8, v21
	v_cmp_ne_u32_e32 vcc, 5, v24
	v_cndmask_b32_e32 v44, 7, v44, vcc
	v_lshlrev_b16_e32 v44, 8, v44
	v_or_b32_sdwa v43, v43, v44 dst_sel:DWORD dst_unused:UNUSED_PAD src0_sel:BYTE_0 src1_sel:DWORD
	v_lshrrev_b32_e32 v44, 24, v21
	v_cmp_ne_u32_e32 vcc, 7, v24
	v_cndmask_b32_e32 v44, 7, v44, vcc
	v_lshrrev_b32_e32 v45, 16, v21
	v_cmp_ne_u32_e32 vcc, 6, v24
	v_and_b32_e32 v25, 0x80, v17
	v_lshlrev_b16_e32 v44, 8, v44
	v_cndmask_b32_e32 v45, 7, v45, vcc
	v_or_b32_sdwa v44, v45, v44 dst_sel:WORD_1 dst_unused:UNUSED_PAD src0_sel:BYTE_0 src1_sel:DWORD
	v_cmp_eq_u32_e32 vcc, 0, v25
	v_bfe_u32 v25, v17, 7, 1
	v_or_b32_sdwa v43, v43, v44 dst_sel:DWORD dst_unused:UNUSED_PAD src0_sel:WORD_0 src1_sel:DWORD
	v_add_u32_e32 v24, v24, v25
	v_cndmask_b32_e32 v20, v26, v20, vcc
	v_cndmask_b32_e32 v21, v43, v21, vcc
	;; [unrolled: 1-line block ×6, first 2 shown]
	v_cmp_ne_u32_e32 vcc, 0, v24
	v_cndmask_b32_e32 v26, 8, v20, vcc
	v_lshrrev_b32_e32 v27, 8, v20
	v_cmp_ne_u32_e32 vcc, 1, v24
	v_cndmask_b32_e32 v27, 8, v27, vcc
	v_lshlrev_b16_e32 v27, 8, v27
	v_or_b32_sdwa v26, v26, v27 dst_sel:DWORD dst_unused:UNUSED_PAD src0_sel:BYTE_0 src1_sel:DWORD
	v_lshrrev_b32_e32 v27, 24, v20
	v_cmp_ne_u32_e32 vcc, 3, v24
	v_cndmask_b32_e32 v27, 8, v27, vcc
	v_lshrrev_b32_e32 v28, 16, v20
	v_cmp_ne_u32_e32 vcc, 2, v24
	v_lshlrev_b16_e32 v27, 8, v27
	v_cndmask_b32_e32 v28, 8, v28, vcc
	v_or_b32_sdwa v27, v28, v27 dst_sel:WORD_1 dst_unused:UNUSED_PAD src0_sel:BYTE_0 src1_sel:DWORD
	v_cmp_ne_u32_e32 vcc, 20, v24
	v_or_b32_sdwa v26, v26, v27 dst_sel:DWORD dst_unused:UNUSED_PAD src0_sel:WORD_0 src1_sel:DWORD
	v_cndmask_b32_e32 v27, 8, v23, vcc
	v_lshrrev_b32_e32 v28, 8, v23
	v_cmp_ne_u32_e32 vcc, 21, v24
	v_cndmask_b32_e32 v28, 8, v28, vcc
	v_lshlrev_b16_e32 v28, 8, v28
	v_or_b32_sdwa v27, v27, v28 dst_sel:DWORD dst_unused:UNUSED_PAD src0_sel:BYTE_0 src1_sel:DWORD
	v_lshrrev_b32_e32 v28, 24, v23
	v_cmp_ne_u32_e32 vcc, 23, v24
	v_cndmask_b32_e32 v28, 8, v28, vcc
	v_lshrrev_b32_e32 v41, 16, v23
	v_cmp_ne_u32_e32 vcc, 22, v24
	v_lshlrev_b16_e32 v28, 8, v28
	v_cndmask_b32_e32 v41, 8, v41, vcc
	v_or_b32_sdwa v28, v41, v28 dst_sel:WORD_1 dst_unused:UNUSED_PAD src0_sel:BYTE_0 src1_sel:DWORD
	v_cmp_ne_u32_e32 vcc, 16, v24
	v_or_b32_sdwa v27, v27, v28 dst_sel:DWORD dst_unused:UNUSED_PAD src0_sel:WORD_0 src1_sel:DWORD
	v_cndmask_b32_e32 v28, 8, v18, vcc
	v_lshrrev_b32_e32 v41, 8, v18
	v_cmp_ne_u32_e32 vcc, 17, v24
	v_cndmask_b32_e32 v41, 8, v41, vcc
	v_lshlrev_b16_e32 v41, 8, v41
	v_or_b32_sdwa v28, v28, v41 dst_sel:DWORD dst_unused:UNUSED_PAD src0_sel:BYTE_0 src1_sel:DWORD
	v_lshrrev_b32_e32 v41, 24, v18
	v_cmp_ne_u32_e32 vcc, 19, v24
	v_cndmask_b32_e32 v41, 8, v41, vcc
	v_lshrrev_b32_e32 v42, 16, v18
	v_cmp_ne_u32_e32 vcc, 18, v24
	v_lshlrev_b16_e32 v41, 8, v41
	v_cndmask_b32_e32 v42, 8, v42, vcc
	v_or_b32_sdwa v41, v42, v41 dst_sel:WORD_1 dst_unused:UNUSED_PAD src0_sel:BYTE_0 src1_sel:DWORD
	v_cmp_ne_u32_e32 vcc, 12, v24
	v_or_b32_sdwa v28, v28, v41 dst_sel:DWORD dst_unused:UNUSED_PAD src0_sel:WORD_0 src1_sel:DWORD
	v_cndmask_b32_e32 v41, 8, v22, vcc
	v_lshrrev_b32_e32 v42, 8, v22
	v_cmp_ne_u32_e32 vcc, 13, v24
	v_cndmask_b32_e32 v42, 8, v42, vcc
	v_lshlrev_b16_e32 v42, 8, v42
	v_or_b32_sdwa v41, v41, v42 dst_sel:DWORD dst_unused:UNUSED_PAD src0_sel:BYTE_0 src1_sel:DWORD
	v_lshrrev_b32_e32 v42, 24, v22
	v_cmp_ne_u32_e32 vcc, 15, v24
	v_cndmask_b32_e32 v42, 8, v42, vcc
	v_lshrrev_b32_e32 v43, 16, v22
	v_cmp_ne_u32_e32 vcc, 14, v24
	v_lshlrev_b16_e32 v42, 8, v42
	v_cndmask_b32_e32 v43, 8, v43, vcc
	v_or_b32_sdwa v42, v43, v42 dst_sel:WORD_1 dst_unused:UNUSED_PAD src0_sel:BYTE_0 src1_sel:DWORD
	v_cmp_ne_u32_e32 vcc, 8, v24
	v_or_b32_sdwa v41, v41, v42 dst_sel:DWORD dst_unused:UNUSED_PAD src0_sel:WORD_0 src1_sel:DWORD
	v_cndmask_b32_e32 v42, 8, v19, vcc
	v_lshrrev_b32_e32 v43, 8, v19
	v_cmp_ne_u32_e32 vcc, 9, v24
	v_cndmask_b32_e32 v43, 8, v43, vcc
	v_lshlrev_b16_e32 v43, 8, v43
	v_or_b32_sdwa v42, v42, v43 dst_sel:DWORD dst_unused:UNUSED_PAD src0_sel:BYTE_0 src1_sel:DWORD
	v_lshrrev_b32_e32 v43, 24, v19
	v_cmp_ne_u32_e32 vcc, 11, v24
	v_cndmask_b32_e32 v43, 8, v43, vcc
	v_lshrrev_b32_e32 v44, 16, v19
	v_cmp_ne_u32_e32 vcc, 10, v24
	v_lshlrev_b16_e32 v43, 8, v43
	v_cndmask_b32_e32 v44, 8, v44, vcc
	v_or_b32_sdwa v43, v44, v43 dst_sel:WORD_1 dst_unused:UNUSED_PAD src0_sel:BYTE_0 src1_sel:DWORD
	v_cmp_ne_u32_e32 vcc, 4, v24
	v_or_b32_sdwa v42, v42, v43 dst_sel:DWORD dst_unused:UNUSED_PAD src0_sel:WORD_0 src1_sel:DWORD
	v_cndmask_b32_e32 v43, 8, v21, vcc
	v_lshrrev_b32_e32 v44, 8, v21
	v_cmp_ne_u32_e32 vcc, 5, v24
	v_cndmask_b32_e32 v44, 8, v44, vcc
	v_lshlrev_b16_e32 v44, 8, v44
	v_or_b32_sdwa v43, v43, v44 dst_sel:DWORD dst_unused:UNUSED_PAD src0_sel:BYTE_0 src1_sel:DWORD
	v_lshrrev_b32_e32 v44, 24, v21
	v_cmp_ne_u32_e32 vcc, 7, v24
	v_cndmask_b32_e32 v44, 8, v44, vcc
	v_lshrrev_b32_e32 v45, 16, v21
	v_cmp_ne_u32_e32 vcc, 6, v24
	v_and_b32_e32 v25, 0x100, v17
	v_lshlrev_b16_e32 v44, 8, v44
	v_cndmask_b32_e32 v45, 8, v45, vcc
	v_or_b32_sdwa v44, v45, v44 dst_sel:WORD_1 dst_unused:UNUSED_PAD src0_sel:BYTE_0 src1_sel:DWORD
	v_cmp_eq_u32_e32 vcc, 0, v25
	v_bfe_u32 v25, v17, 8, 1
	v_or_b32_sdwa v43, v43, v44 dst_sel:DWORD dst_unused:UNUSED_PAD src0_sel:WORD_0 src1_sel:DWORD
	v_add_u32_e32 v24, v24, v25
	v_cndmask_b32_e32 v20, v26, v20, vcc
	v_cndmask_b32_e32 v21, v43, v21, vcc
	;; [unrolled: 1-line block ×6, first 2 shown]
	v_cmp_ne_u32_e32 vcc, 0, v24
	v_cndmask_b32_e32 v26, 9, v20, vcc
	v_lshrrev_b32_e32 v27, 8, v20
	v_cmp_ne_u32_e32 vcc, 1, v24
	v_cndmask_b32_e32 v27, 9, v27, vcc
	v_lshlrev_b16_e32 v27, 8, v27
	v_or_b32_sdwa v26, v26, v27 dst_sel:DWORD dst_unused:UNUSED_PAD src0_sel:BYTE_0 src1_sel:DWORD
	v_lshrrev_b32_e32 v27, 24, v20
	v_cmp_ne_u32_e32 vcc, 3, v24
	v_cndmask_b32_e32 v27, 9, v27, vcc
	v_lshrrev_b32_e32 v28, 16, v20
	v_cmp_ne_u32_e32 vcc, 2, v24
	v_lshlrev_b16_e32 v27, 8, v27
	v_cndmask_b32_e32 v28, 9, v28, vcc
	v_or_b32_sdwa v27, v28, v27 dst_sel:WORD_1 dst_unused:UNUSED_PAD src0_sel:BYTE_0 src1_sel:DWORD
	v_cmp_ne_u32_e32 vcc, 20, v24
	v_or_b32_sdwa v26, v26, v27 dst_sel:DWORD dst_unused:UNUSED_PAD src0_sel:WORD_0 src1_sel:DWORD
	v_cndmask_b32_e32 v27, 9, v23, vcc
	v_lshrrev_b32_e32 v28, 8, v23
	v_cmp_ne_u32_e32 vcc, 21, v24
	v_cndmask_b32_e32 v28, 9, v28, vcc
	v_lshlrev_b16_e32 v28, 8, v28
	v_or_b32_sdwa v27, v27, v28 dst_sel:DWORD dst_unused:UNUSED_PAD src0_sel:BYTE_0 src1_sel:DWORD
	v_lshrrev_b32_e32 v28, 24, v23
	v_cmp_ne_u32_e32 vcc, 23, v24
	v_cndmask_b32_e32 v28, 9, v28, vcc
	v_lshrrev_b32_e32 v41, 16, v23
	v_cmp_ne_u32_e32 vcc, 22, v24
	v_lshlrev_b16_e32 v28, 8, v28
	v_cndmask_b32_e32 v41, 9, v41, vcc
	v_or_b32_sdwa v28, v41, v28 dst_sel:WORD_1 dst_unused:UNUSED_PAD src0_sel:BYTE_0 src1_sel:DWORD
	v_cmp_ne_u32_e32 vcc, 16, v24
	v_or_b32_sdwa v27, v27, v28 dst_sel:DWORD dst_unused:UNUSED_PAD src0_sel:WORD_0 src1_sel:DWORD
	;; [unrolled: 16-line block ×5, first 2 shown]
	v_cndmask_b32_e32 v43, 9, v21, vcc
	v_lshrrev_b32_e32 v44, 8, v21
	v_cmp_ne_u32_e32 vcc, 5, v24
	v_cndmask_b32_e32 v44, 9, v44, vcc
	v_lshlrev_b16_e32 v44, 8, v44
	v_or_b32_sdwa v43, v43, v44 dst_sel:DWORD dst_unused:UNUSED_PAD src0_sel:BYTE_0 src1_sel:DWORD
	v_lshrrev_b32_e32 v44, 24, v21
	v_cmp_ne_u32_e32 vcc, 7, v24
	v_cndmask_b32_e32 v44, 9, v44, vcc
	v_lshrrev_b32_e32 v45, 16, v21
	v_cmp_ne_u32_e32 vcc, 6, v24
	v_and_b32_e32 v25, 0x200, v17
	v_lshlrev_b16_e32 v44, 8, v44
	v_cndmask_b32_e32 v45, 9, v45, vcc
	v_or_b32_sdwa v44, v45, v44 dst_sel:WORD_1 dst_unused:UNUSED_PAD src0_sel:BYTE_0 src1_sel:DWORD
	v_cmp_eq_u32_e32 vcc, 0, v25
	v_bfe_u32 v25, v17, 9, 1
	v_or_b32_sdwa v43, v43, v44 dst_sel:DWORD dst_unused:UNUSED_PAD src0_sel:WORD_0 src1_sel:DWORD
	v_add_u32_e32 v24, v24, v25
	v_cndmask_b32_e32 v20, v26, v20, vcc
	v_cndmask_b32_e32 v21, v43, v21, vcc
	;; [unrolled: 1-line block ×6, first 2 shown]
	v_cmp_ne_u32_e32 vcc, 0, v24
	v_cndmask_b32_e32 v26, 10, v20, vcc
	v_lshrrev_b32_e32 v27, 8, v20
	v_cmp_ne_u32_e32 vcc, 1, v24
	v_cndmask_b32_e32 v27, 10, v27, vcc
	v_lshlrev_b16_e32 v27, 8, v27
	v_or_b32_sdwa v26, v26, v27 dst_sel:DWORD dst_unused:UNUSED_PAD src0_sel:BYTE_0 src1_sel:DWORD
	v_lshrrev_b32_e32 v27, 24, v20
	v_cmp_ne_u32_e32 vcc, 3, v24
	v_cndmask_b32_e32 v27, 10, v27, vcc
	v_lshrrev_b32_e32 v28, 16, v20
	v_cmp_ne_u32_e32 vcc, 2, v24
	v_lshlrev_b16_e32 v27, 8, v27
	v_cndmask_b32_e32 v28, 10, v28, vcc
	v_or_b32_sdwa v27, v28, v27 dst_sel:WORD_1 dst_unused:UNUSED_PAD src0_sel:BYTE_0 src1_sel:DWORD
	v_cmp_ne_u32_e32 vcc, 20, v24
	v_or_b32_sdwa v26, v26, v27 dst_sel:DWORD dst_unused:UNUSED_PAD src0_sel:WORD_0 src1_sel:DWORD
	v_cndmask_b32_e32 v27, 10, v23, vcc
	v_lshrrev_b32_e32 v28, 8, v23
	v_cmp_ne_u32_e32 vcc, 21, v24
	v_cndmask_b32_e32 v28, 10, v28, vcc
	v_lshlrev_b16_e32 v28, 8, v28
	v_or_b32_sdwa v27, v27, v28 dst_sel:DWORD dst_unused:UNUSED_PAD src0_sel:BYTE_0 src1_sel:DWORD
	v_lshrrev_b32_e32 v28, 24, v23
	v_cmp_ne_u32_e32 vcc, 23, v24
	v_cndmask_b32_e32 v28, 10, v28, vcc
	v_lshrrev_b32_e32 v41, 16, v23
	v_cmp_ne_u32_e32 vcc, 22, v24
	v_lshlrev_b16_e32 v28, 8, v28
	v_cndmask_b32_e32 v41, 10, v41, vcc
	v_or_b32_sdwa v28, v41, v28 dst_sel:WORD_1 dst_unused:UNUSED_PAD src0_sel:BYTE_0 src1_sel:DWORD
	v_cmp_ne_u32_e32 vcc, 16, v24
	v_or_b32_sdwa v27, v27, v28 dst_sel:DWORD dst_unused:UNUSED_PAD src0_sel:WORD_0 src1_sel:DWORD
	;; [unrolled: 16-line block ×5, first 2 shown]
	v_cndmask_b32_e32 v43, 10, v21, vcc
	v_lshrrev_b32_e32 v44, 8, v21
	v_cmp_ne_u32_e32 vcc, 5, v24
	v_cndmask_b32_e32 v44, 10, v44, vcc
	v_lshlrev_b16_e32 v44, 8, v44
	v_or_b32_sdwa v43, v43, v44 dst_sel:DWORD dst_unused:UNUSED_PAD src0_sel:BYTE_0 src1_sel:DWORD
	v_lshrrev_b32_e32 v44, 24, v21
	v_cmp_ne_u32_e32 vcc, 7, v24
	v_cndmask_b32_e32 v44, 10, v44, vcc
	v_lshrrev_b32_e32 v45, 16, v21
	v_cmp_ne_u32_e32 vcc, 6, v24
	v_and_b32_e32 v25, 0x400, v17
	v_lshlrev_b16_e32 v44, 8, v44
	v_cndmask_b32_e32 v45, 10, v45, vcc
	v_or_b32_sdwa v44, v45, v44 dst_sel:WORD_1 dst_unused:UNUSED_PAD src0_sel:BYTE_0 src1_sel:DWORD
	v_cmp_eq_u32_e32 vcc, 0, v25
	v_bfe_u32 v25, v17, 10, 1
	v_or_b32_sdwa v43, v43, v44 dst_sel:DWORD dst_unused:UNUSED_PAD src0_sel:WORD_0 src1_sel:DWORD
	v_add_u32_e32 v24, v24, v25
	v_cndmask_b32_e32 v20, v26, v20, vcc
	v_cndmask_b32_e32 v21, v43, v21, vcc
	;; [unrolled: 1-line block ×6, first 2 shown]
	v_cmp_ne_u32_e32 vcc, 0, v24
	v_cndmask_b32_e32 v26, 11, v20, vcc
	v_lshrrev_b32_e32 v27, 8, v20
	v_cmp_ne_u32_e32 vcc, 1, v24
	v_cndmask_b32_e32 v27, 11, v27, vcc
	v_lshlrev_b16_e32 v27, 8, v27
	v_or_b32_sdwa v26, v26, v27 dst_sel:DWORD dst_unused:UNUSED_PAD src0_sel:BYTE_0 src1_sel:DWORD
	v_lshrrev_b32_e32 v27, 24, v20
	v_cmp_ne_u32_e32 vcc, 3, v24
	v_cndmask_b32_e32 v27, 11, v27, vcc
	v_lshrrev_b32_e32 v28, 16, v20
	v_cmp_ne_u32_e32 vcc, 2, v24
	v_lshlrev_b16_e32 v27, 8, v27
	v_cndmask_b32_e32 v28, 11, v28, vcc
	v_or_b32_sdwa v27, v28, v27 dst_sel:WORD_1 dst_unused:UNUSED_PAD src0_sel:BYTE_0 src1_sel:DWORD
	v_cmp_ne_u32_e32 vcc, 20, v24
	v_or_b32_sdwa v26, v26, v27 dst_sel:DWORD dst_unused:UNUSED_PAD src0_sel:WORD_0 src1_sel:DWORD
	v_cndmask_b32_e32 v27, 11, v23, vcc
	v_lshrrev_b32_e32 v28, 8, v23
	v_cmp_ne_u32_e32 vcc, 21, v24
	v_cndmask_b32_e32 v28, 11, v28, vcc
	v_lshlrev_b16_e32 v28, 8, v28
	v_or_b32_sdwa v27, v27, v28 dst_sel:DWORD dst_unused:UNUSED_PAD src0_sel:BYTE_0 src1_sel:DWORD
	v_lshrrev_b32_e32 v28, 24, v23
	v_cmp_ne_u32_e32 vcc, 23, v24
	v_cndmask_b32_e32 v28, 11, v28, vcc
	v_lshrrev_b32_e32 v41, 16, v23
	v_cmp_ne_u32_e32 vcc, 22, v24
	v_lshlrev_b16_e32 v28, 8, v28
	v_cndmask_b32_e32 v41, 11, v41, vcc
	v_or_b32_sdwa v28, v41, v28 dst_sel:WORD_1 dst_unused:UNUSED_PAD src0_sel:BYTE_0 src1_sel:DWORD
	v_cmp_ne_u32_e32 vcc, 16, v24
	v_or_b32_sdwa v27, v27, v28 dst_sel:DWORD dst_unused:UNUSED_PAD src0_sel:WORD_0 src1_sel:DWORD
	;; [unrolled: 16-line block ×5, first 2 shown]
	v_cndmask_b32_e32 v43, 11, v21, vcc
	v_lshrrev_b32_e32 v44, 8, v21
	v_cmp_ne_u32_e32 vcc, 5, v24
	v_cndmask_b32_e32 v44, 11, v44, vcc
	v_lshlrev_b16_e32 v44, 8, v44
	v_or_b32_sdwa v43, v43, v44 dst_sel:DWORD dst_unused:UNUSED_PAD src0_sel:BYTE_0 src1_sel:DWORD
	v_lshrrev_b32_e32 v44, 24, v21
	v_cmp_ne_u32_e32 vcc, 7, v24
	v_cndmask_b32_e32 v44, 11, v44, vcc
	v_lshrrev_b32_e32 v45, 16, v21
	v_cmp_ne_u32_e32 vcc, 6, v24
	v_and_b32_e32 v25, 0x800, v17
	v_lshlrev_b16_e32 v44, 8, v44
	v_cndmask_b32_e32 v45, 11, v45, vcc
	v_or_b32_sdwa v44, v45, v44 dst_sel:WORD_1 dst_unused:UNUSED_PAD src0_sel:BYTE_0 src1_sel:DWORD
	v_cmp_eq_u32_e32 vcc, 0, v25
	v_bfe_u32 v25, v17, 11, 1
	v_or_b32_sdwa v43, v43, v44 dst_sel:DWORD dst_unused:UNUSED_PAD src0_sel:WORD_0 src1_sel:DWORD
	v_add_u32_e32 v24, v24, v25
	v_cndmask_b32_e32 v20, v26, v20, vcc
	v_cndmask_b32_e32 v21, v43, v21, vcc
	;; [unrolled: 1-line block ×6, first 2 shown]
	v_cmp_ne_u32_e32 vcc, 0, v24
	v_cndmask_b32_e32 v26, 12, v20, vcc
	v_lshrrev_b32_e32 v27, 8, v20
	v_cmp_ne_u32_e32 vcc, 1, v24
	v_cndmask_b32_e32 v27, 12, v27, vcc
	v_lshlrev_b16_e32 v27, 8, v27
	v_or_b32_sdwa v26, v26, v27 dst_sel:DWORD dst_unused:UNUSED_PAD src0_sel:BYTE_0 src1_sel:DWORD
	v_lshrrev_b32_e32 v27, 24, v20
	v_cmp_ne_u32_e32 vcc, 3, v24
	v_cndmask_b32_e32 v27, 12, v27, vcc
	v_lshrrev_b32_e32 v28, 16, v20
	v_cmp_ne_u32_e32 vcc, 2, v24
	v_lshlrev_b16_e32 v27, 8, v27
	v_cndmask_b32_e32 v28, 12, v28, vcc
	v_or_b32_sdwa v27, v28, v27 dst_sel:WORD_1 dst_unused:UNUSED_PAD src0_sel:BYTE_0 src1_sel:DWORD
	v_cmp_ne_u32_e32 vcc, 20, v24
	v_or_b32_sdwa v26, v26, v27 dst_sel:DWORD dst_unused:UNUSED_PAD src0_sel:WORD_0 src1_sel:DWORD
	v_cndmask_b32_e32 v27, 12, v23, vcc
	v_lshrrev_b32_e32 v28, 8, v23
	v_cmp_ne_u32_e32 vcc, 21, v24
	v_cndmask_b32_e32 v28, 12, v28, vcc
	v_lshlrev_b16_e32 v28, 8, v28
	v_or_b32_sdwa v27, v27, v28 dst_sel:DWORD dst_unused:UNUSED_PAD src0_sel:BYTE_0 src1_sel:DWORD
	v_lshrrev_b32_e32 v28, 24, v23
	v_cmp_ne_u32_e32 vcc, 23, v24
	v_cndmask_b32_e32 v28, 12, v28, vcc
	v_lshrrev_b32_e32 v41, 16, v23
	v_cmp_ne_u32_e32 vcc, 22, v24
	v_lshlrev_b16_e32 v28, 8, v28
	v_cndmask_b32_e32 v41, 12, v41, vcc
	v_or_b32_sdwa v28, v41, v28 dst_sel:WORD_1 dst_unused:UNUSED_PAD src0_sel:BYTE_0 src1_sel:DWORD
	v_cmp_ne_u32_e32 vcc, 16, v24
	v_or_b32_sdwa v27, v27, v28 dst_sel:DWORD dst_unused:UNUSED_PAD src0_sel:WORD_0 src1_sel:DWORD
	;; [unrolled: 16-line block ×5, first 2 shown]
	v_cndmask_b32_e32 v43, 12, v21, vcc
	v_lshrrev_b32_e32 v44, 8, v21
	v_cmp_ne_u32_e32 vcc, 5, v24
	v_cndmask_b32_e32 v44, 12, v44, vcc
	v_lshlrev_b16_e32 v44, 8, v44
	v_or_b32_sdwa v43, v43, v44 dst_sel:DWORD dst_unused:UNUSED_PAD src0_sel:BYTE_0 src1_sel:DWORD
	v_lshrrev_b32_e32 v44, 24, v21
	v_cmp_ne_u32_e32 vcc, 7, v24
	v_cndmask_b32_e32 v44, 12, v44, vcc
	v_lshrrev_b32_e32 v45, 16, v21
	v_cmp_ne_u32_e32 vcc, 6, v24
	v_and_b32_e32 v25, 0x1000, v17
	v_lshlrev_b16_e32 v44, 8, v44
	v_cndmask_b32_e32 v45, 12, v45, vcc
	v_or_b32_sdwa v44, v45, v44 dst_sel:WORD_1 dst_unused:UNUSED_PAD src0_sel:BYTE_0 src1_sel:DWORD
	v_cmp_eq_u32_e32 vcc, 0, v25
	v_bfe_u32 v25, v17, 12, 1
	v_or_b32_sdwa v43, v43, v44 dst_sel:DWORD dst_unused:UNUSED_PAD src0_sel:WORD_0 src1_sel:DWORD
	v_add_u32_e32 v24, v24, v25
	v_cndmask_b32_e32 v20, v26, v20, vcc
	v_cndmask_b32_e32 v21, v43, v21, vcc
	;; [unrolled: 1-line block ×6, first 2 shown]
	v_cmp_ne_u32_e32 vcc, 0, v24
	v_cndmask_b32_e32 v26, 13, v20, vcc
	v_lshrrev_b32_e32 v27, 8, v20
	v_cmp_ne_u32_e32 vcc, 1, v24
	v_cndmask_b32_e32 v27, 13, v27, vcc
	v_lshlrev_b16_e32 v27, 8, v27
	v_or_b32_sdwa v26, v26, v27 dst_sel:DWORD dst_unused:UNUSED_PAD src0_sel:BYTE_0 src1_sel:DWORD
	v_lshrrev_b32_e32 v27, 24, v20
	v_cmp_ne_u32_e32 vcc, 3, v24
	v_cndmask_b32_e32 v27, 13, v27, vcc
	v_lshrrev_b32_e32 v28, 16, v20
	v_cmp_ne_u32_e32 vcc, 2, v24
	v_lshlrev_b16_e32 v27, 8, v27
	v_cndmask_b32_e32 v28, 13, v28, vcc
	v_or_b32_sdwa v27, v28, v27 dst_sel:WORD_1 dst_unused:UNUSED_PAD src0_sel:BYTE_0 src1_sel:DWORD
	v_cmp_ne_u32_e32 vcc, 20, v24
	v_or_b32_sdwa v26, v26, v27 dst_sel:DWORD dst_unused:UNUSED_PAD src0_sel:WORD_0 src1_sel:DWORD
	v_cndmask_b32_e32 v27, 13, v23, vcc
	v_lshrrev_b32_e32 v28, 8, v23
	v_cmp_ne_u32_e32 vcc, 21, v24
	v_cndmask_b32_e32 v28, 13, v28, vcc
	v_lshlrev_b16_e32 v28, 8, v28
	v_or_b32_sdwa v27, v27, v28 dst_sel:DWORD dst_unused:UNUSED_PAD src0_sel:BYTE_0 src1_sel:DWORD
	v_lshrrev_b32_e32 v28, 24, v23
	v_cmp_ne_u32_e32 vcc, 23, v24
	v_cndmask_b32_e32 v28, 13, v28, vcc
	v_lshrrev_b32_e32 v41, 16, v23
	v_cmp_ne_u32_e32 vcc, 22, v24
	v_lshlrev_b16_e32 v28, 8, v28
	v_cndmask_b32_e32 v41, 13, v41, vcc
	v_or_b32_sdwa v28, v41, v28 dst_sel:WORD_1 dst_unused:UNUSED_PAD src0_sel:BYTE_0 src1_sel:DWORD
	v_cmp_ne_u32_e32 vcc, 16, v24
	v_or_b32_sdwa v27, v27, v28 dst_sel:DWORD dst_unused:UNUSED_PAD src0_sel:WORD_0 src1_sel:DWORD
	;; [unrolled: 16-line block ×5, first 2 shown]
	v_cndmask_b32_e32 v43, 13, v21, vcc
	v_lshrrev_b32_e32 v44, 8, v21
	v_cmp_ne_u32_e32 vcc, 5, v24
	v_cndmask_b32_e32 v44, 13, v44, vcc
	v_lshlrev_b16_e32 v44, 8, v44
	v_or_b32_sdwa v43, v43, v44 dst_sel:DWORD dst_unused:UNUSED_PAD src0_sel:BYTE_0 src1_sel:DWORD
	v_lshrrev_b32_e32 v44, 24, v21
	v_cmp_ne_u32_e32 vcc, 7, v24
	v_cndmask_b32_e32 v44, 13, v44, vcc
	v_lshrrev_b32_e32 v45, 16, v21
	v_cmp_ne_u32_e32 vcc, 6, v24
	v_and_b32_e32 v25, 0x2000, v17
	v_lshlrev_b16_e32 v44, 8, v44
	v_cndmask_b32_e32 v45, 13, v45, vcc
	v_or_b32_sdwa v44, v45, v44 dst_sel:WORD_1 dst_unused:UNUSED_PAD src0_sel:BYTE_0 src1_sel:DWORD
	v_cmp_eq_u32_e32 vcc, 0, v25
	v_bfe_u32 v25, v17, 13, 1
	v_or_b32_sdwa v43, v43, v44 dst_sel:DWORD dst_unused:UNUSED_PAD src0_sel:WORD_0 src1_sel:DWORD
	v_add_u32_e32 v24, v24, v25
	v_cndmask_b32_e32 v20, v26, v20, vcc
	v_cndmask_b32_e32 v21, v43, v21, vcc
	;; [unrolled: 1-line block ×6, first 2 shown]
	v_cmp_ne_u32_e32 vcc, 0, v24
	v_cndmask_b32_e32 v26, 14, v20, vcc
	v_lshrrev_b32_e32 v27, 8, v20
	v_cmp_ne_u32_e32 vcc, 1, v24
	v_cndmask_b32_e32 v27, 14, v27, vcc
	v_lshlrev_b16_e32 v27, 8, v27
	v_or_b32_sdwa v26, v26, v27 dst_sel:DWORD dst_unused:UNUSED_PAD src0_sel:BYTE_0 src1_sel:DWORD
	v_lshrrev_b32_e32 v27, 24, v20
	v_cmp_ne_u32_e32 vcc, 3, v24
	v_cndmask_b32_e32 v27, 14, v27, vcc
	v_lshrrev_b32_e32 v28, 16, v20
	v_cmp_ne_u32_e32 vcc, 2, v24
	v_lshlrev_b16_e32 v27, 8, v27
	v_cndmask_b32_e32 v28, 14, v28, vcc
	v_or_b32_sdwa v27, v28, v27 dst_sel:WORD_1 dst_unused:UNUSED_PAD src0_sel:BYTE_0 src1_sel:DWORD
	v_cmp_ne_u32_e32 vcc, 20, v24
	v_or_b32_sdwa v26, v26, v27 dst_sel:DWORD dst_unused:UNUSED_PAD src0_sel:WORD_0 src1_sel:DWORD
	v_cndmask_b32_e32 v27, 14, v23, vcc
	v_lshrrev_b32_e32 v28, 8, v23
	v_cmp_ne_u32_e32 vcc, 21, v24
	v_cndmask_b32_e32 v28, 14, v28, vcc
	v_lshlrev_b16_e32 v28, 8, v28
	v_or_b32_sdwa v27, v27, v28 dst_sel:DWORD dst_unused:UNUSED_PAD src0_sel:BYTE_0 src1_sel:DWORD
	v_lshrrev_b32_e32 v28, 24, v23
	v_cmp_ne_u32_e32 vcc, 23, v24
	v_cndmask_b32_e32 v28, 14, v28, vcc
	v_lshrrev_b32_e32 v41, 16, v23
	v_cmp_ne_u32_e32 vcc, 22, v24
	v_lshlrev_b16_e32 v28, 8, v28
	v_cndmask_b32_e32 v41, 14, v41, vcc
	v_or_b32_sdwa v28, v41, v28 dst_sel:WORD_1 dst_unused:UNUSED_PAD src0_sel:BYTE_0 src1_sel:DWORD
	v_cmp_ne_u32_e32 vcc, 16, v24
	v_or_b32_sdwa v27, v27, v28 dst_sel:DWORD dst_unused:UNUSED_PAD src0_sel:WORD_0 src1_sel:DWORD
	;; [unrolled: 16-line block ×5, first 2 shown]
	v_cndmask_b32_e32 v43, 14, v21, vcc
	v_lshrrev_b32_e32 v44, 8, v21
	v_cmp_ne_u32_e32 vcc, 5, v24
	v_cndmask_b32_e32 v44, 14, v44, vcc
	v_lshlrev_b16_e32 v44, 8, v44
	v_or_b32_sdwa v43, v43, v44 dst_sel:DWORD dst_unused:UNUSED_PAD src0_sel:BYTE_0 src1_sel:DWORD
	v_lshrrev_b32_e32 v44, 24, v21
	v_cmp_ne_u32_e32 vcc, 7, v24
	v_cndmask_b32_e32 v44, 14, v44, vcc
	v_lshrrev_b32_e32 v45, 16, v21
	v_cmp_ne_u32_e32 vcc, 6, v24
	v_and_b32_e32 v25, 0x4000, v17
	v_lshlrev_b16_e32 v44, 8, v44
	v_cndmask_b32_e32 v45, 14, v45, vcc
	v_or_b32_sdwa v44, v45, v44 dst_sel:WORD_1 dst_unused:UNUSED_PAD src0_sel:BYTE_0 src1_sel:DWORD
	v_cmp_eq_u32_e32 vcc, 0, v25
	v_bfe_u32 v25, v17, 14, 1
	v_or_b32_sdwa v43, v43, v44 dst_sel:DWORD dst_unused:UNUSED_PAD src0_sel:WORD_0 src1_sel:DWORD
	v_add_u32_e32 v24, v24, v25
	v_cndmask_b32_e32 v20, v26, v20, vcc
	v_cndmask_b32_e32 v21, v43, v21, vcc
	;; [unrolled: 1-line block ×6, first 2 shown]
	v_cmp_ne_u32_e32 vcc, 0, v24
	v_cndmask_b32_e32 v26, 15, v20, vcc
	v_lshrrev_b32_e32 v27, 8, v20
	v_cmp_ne_u32_e32 vcc, 1, v24
	v_cndmask_b32_e32 v27, 15, v27, vcc
	v_lshlrev_b16_e32 v27, 8, v27
	v_or_b32_sdwa v26, v26, v27 dst_sel:DWORD dst_unused:UNUSED_PAD src0_sel:BYTE_0 src1_sel:DWORD
	v_lshrrev_b32_e32 v27, 24, v20
	v_cmp_ne_u32_e32 vcc, 3, v24
	v_cndmask_b32_e32 v27, 15, v27, vcc
	v_lshrrev_b32_e32 v28, 16, v20
	v_cmp_ne_u32_e32 vcc, 2, v24
	v_lshlrev_b16_e32 v27, 8, v27
	v_cndmask_b32_e32 v28, 15, v28, vcc
	v_or_b32_sdwa v27, v28, v27 dst_sel:WORD_1 dst_unused:UNUSED_PAD src0_sel:BYTE_0 src1_sel:DWORD
	v_cmp_ne_u32_e32 vcc, 20, v24
	v_or_b32_sdwa v26, v26, v27 dst_sel:DWORD dst_unused:UNUSED_PAD src0_sel:WORD_0 src1_sel:DWORD
	v_cndmask_b32_e32 v27, 15, v23, vcc
	v_lshrrev_b32_e32 v28, 8, v23
	v_cmp_ne_u32_e32 vcc, 21, v24
	v_cndmask_b32_e32 v28, 15, v28, vcc
	v_lshlrev_b16_e32 v28, 8, v28
	v_or_b32_sdwa v27, v27, v28 dst_sel:DWORD dst_unused:UNUSED_PAD src0_sel:BYTE_0 src1_sel:DWORD
	v_lshrrev_b32_e32 v28, 24, v23
	v_cmp_ne_u32_e32 vcc, 23, v24
	v_cndmask_b32_e32 v28, 15, v28, vcc
	v_lshrrev_b32_e32 v41, 16, v23
	v_cmp_ne_u32_e32 vcc, 22, v24
	v_lshlrev_b16_e32 v28, 8, v28
	v_cndmask_b32_e32 v41, 15, v41, vcc
	v_or_b32_sdwa v28, v41, v28 dst_sel:WORD_1 dst_unused:UNUSED_PAD src0_sel:BYTE_0 src1_sel:DWORD
	v_cmp_ne_u32_e32 vcc, 16, v24
	v_or_b32_sdwa v27, v27, v28 dst_sel:DWORD dst_unused:UNUSED_PAD src0_sel:WORD_0 src1_sel:DWORD
	;; [unrolled: 16-line block ×5, first 2 shown]
	v_cndmask_b32_e32 v43, 15, v21, vcc
	v_lshrrev_b32_e32 v44, 8, v21
	v_cmp_ne_u32_e32 vcc, 5, v24
	v_cndmask_b32_e32 v44, 15, v44, vcc
	v_lshlrev_b16_e32 v44, 8, v44
	v_or_b32_sdwa v43, v43, v44 dst_sel:DWORD dst_unused:UNUSED_PAD src0_sel:BYTE_0 src1_sel:DWORD
	v_lshrrev_b32_e32 v44, 24, v21
	v_cmp_ne_u32_e32 vcc, 7, v24
	v_cndmask_b32_e32 v44, 15, v44, vcc
	v_lshrrev_b32_e32 v45, 16, v21
	v_cmp_ne_u32_e32 vcc, 6, v24
	v_and_b32_e32 v25, 0x8000, v17
	v_lshlrev_b16_e32 v44, 8, v44
	v_cndmask_b32_e32 v45, 15, v45, vcc
	v_or_b32_sdwa v44, v45, v44 dst_sel:WORD_1 dst_unused:UNUSED_PAD src0_sel:BYTE_0 src1_sel:DWORD
	v_cmp_eq_u32_e32 vcc, 0, v25
	v_bfe_u32 v25, v17, 15, 1
	v_or_b32_sdwa v43, v43, v44 dst_sel:DWORD dst_unused:UNUSED_PAD src0_sel:WORD_0 src1_sel:DWORD
	v_add_u32_e32 v24, v24, v25
	v_cndmask_b32_e32 v20, v26, v20, vcc
	v_cndmask_b32_e32 v21, v43, v21, vcc
	;; [unrolled: 1-line block ×6, first 2 shown]
	v_cmp_ne_u32_e32 vcc, 0, v24
	v_cndmask_b32_e32 v26, 16, v20, vcc
	v_lshrrev_b32_e32 v27, 8, v20
	v_cmp_ne_u32_e32 vcc, 1, v24
	v_cndmask_b32_e32 v27, 16, v27, vcc
	v_lshlrev_b16_e32 v27, 8, v27
	v_or_b32_sdwa v26, v26, v27 dst_sel:DWORD dst_unused:UNUSED_PAD src0_sel:BYTE_0 src1_sel:DWORD
	v_lshrrev_b32_e32 v27, 24, v20
	v_cmp_ne_u32_e32 vcc, 3, v24
	v_cndmask_b32_e32 v27, 16, v27, vcc
	v_lshrrev_b32_e32 v28, 16, v20
	v_cmp_ne_u32_e32 vcc, 2, v24
	v_lshlrev_b16_e32 v27, 8, v27
	v_cndmask_b32_e32 v28, 16, v28, vcc
	v_or_b32_sdwa v27, v28, v27 dst_sel:WORD_1 dst_unused:UNUSED_PAD src0_sel:BYTE_0 src1_sel:DWORD
	v_cmp_ne_u32_e32 vcc, 20, v24
	v_or_b32_sdwa v26, v26, v27 dst_sel:DWORD dst_unused:UNUSED_PAD src0_sel:WORD_0 src1_sel:DWORD
	v_cndmask_b32_e32 v27, 16, v23, vcc
	v_lshrrev_b32_e32 v28, 8, v23
	v_cmp_ne_u32_e32 vcc, 21, v24
	v_cndmask_b32_e32 v28, 16, v28, vcc
	v_lshlrev_b16_e32 v28, 8, v28
	v_or_b32_sdwa v27, v27, v28 dst_sel:DWORD dst_unused:UNUSED_PAD src0_sel:BYTE_0 src1_sel:DWORD
	v_lshrrev_b32_e32 v28, 24, v23
	v_cmp_ne_u32_e32 vcc, 23, v24
	v_cndmask_b32_e32 v28, 16, v28, vcc
	v_lshrrev_b32_e32 v41, 16, v23
	v_cmp_ne_u32_e32 vcc, 22, v24
	v_lshlrev_b16_e32 v28, 8, v28
	v_cndmask_b32_e32 v41, 16, v41, vcc
	v_or_b32_sdwa v28, v41, v28 dst_sel:WORD_1 dst_unused:UNUSED_PAD src0_sel:BYTE_0 src1_sel:DWORD
	v_cmp_ne_u32_e32 vcc, 16, v24
	v_or_b32_sdwa v27, v27, v28 dst_sel:DWORD dst_unused:UNUSED_PAD src0_sel:WORD_0 src1_sel:DWORD
	;; [unrolled: 16-line block ×5, first 2 shown]
	v_cndmask_b32_e32 v43, 16, v21, vcc
	v_lshrrev_b32_e32 v44, 8, v21
	v_cmp_ne_u32_e32 vcc, 5, v24
	v_cndmask_b32_e32 v44, 16, v44, vcc
	v_lshlrev_b16_e32 v44, 8, v44
	v_or_b32_sdwa v43, v43, v44 dst_sel:DWORD dst_unused:UNUSED_PAD src0_sel:BYTE_0 src1_sel:DWORD
	v_lshrrev_b32_e32 v44, 24, v21
	v_cmp_ne_u32_e32 vcc, 7, v24
	v_cndmask_b32_e32 v44, 16, v44, vcc
	v_lshrrev_b32_e32 v45, 16, v21
	v_cmp_ne_u32_e32 vcc, 6, v24
	v_and_b32_e32 v25, 0x10000, v17
	v_lshlrev_b16_e32 v44, 8, v44
	v_cndmask_b32_e32 v45, 16, v45, vcc
	v_or_b32_sdwa v44, v45, v44 dst_sel:WORD_1 dst_unused:UNUSED_PAD src0_sel:BYTE_0 src1_sel:DWORD
	v_cmp_eq_u32_e32 vcc, 0, v25
	v_bfe_u32 v25, v17, 16, 1
	v_or_b32_sdwa v43, v43, v44 dst_sel:DWORD dst_unused:UNUSED_PAD src0_sel:WORD_0 src1_sel:DWORD
	v_add_u32_e32 v24, v24, v25
	v_cndmask_b32_e32 v20, v26, v20, vcc
	v_cndmask_b32_e32 v21, v43, v21, vcc
	;; [unrolled: 1-line block ×6, first 2 shown]
	v_cmp_ne_u32_e32 vcc, 0, v24
	v_cndmask_b32_e32 v26, 17, v20, vcc
	v_lshrrev_b32_e32 v27, 8, v20
	v_cmp_ne_u32_e32 vcc, 1, v24
	v_cndmask_b32_e32 v27, 17, v27, vcc
	v_lshlrev_b16_e32 v27, 8, v27
	v_or_b32_sdwa v26, v26, v27 dst_sel:DWORD dst_unused:UNUSED_PAD src0_sel:BYTE_0 src1_sel:DWORD
	v_lshrrev_b32_e32 v27, 24, v20
	v_cmp_ne_u32_e32 vcc, 3, v24
	v_cndmask_b32_e32 v27, 17, v27, vcc
	v_lshrrev_b32_e32 v28, 16, v20
	v_cmp_ne_u32_e32 vcc, 2, v24
	v_lshlrev_b16_e32 v27, 8, v27
	v_cndmask_b32_e32 v28, 17, v28, vcc
	v_or_b32_sdwa v27, v28, v27 dst_sel:WORD_1 dst_unused:UNUSED_PAD src0_sel:BYTE_0 src1_sel:DWORD
	v_cmp_ne_u32_e32 vcc, 20, v24
	v_or_b32_sdwa v26, v26, v27 dst_sel:DWORD dst_unused:UNUSED_PAD src0_sel:WORD_0 src1_sel:DWORD
	v_cndmask_b32_e32 v27, 17, v23, vcc
	v_lshrrev_b32_e32 v28, 8, v23
	v_cmp_ne_u32_e32 vcc, 21, v24
	v_cndmask_b32_e32 v28, 17, v28, vcc
	v_lshlrev_b16_e32 v28, 8, v28
	v_or_b32_sdwa v27, v27, v28 dst_sel:DWORD dst_unused:UNUSED_PAD src0_sel:BYTE_0 src1_sel:DWORD
	v_lshrrev_b32_e32 v28, 24, v23
	v_cmp_ne_u32_e32 vcc, 23, v24
	v_cndmask_b32_e32 v28, 17, v28, vcc
	v_lshrrev_b32_e32 v41, 16, v23
	v_cmp_ne_u32_e32 vcc, 22, v24
	v_lshlrev_b16_e32 v28, 8, v28
	v_cndmask_b32_e32 v41, 17, v41, vcc
	v_or_b32_sdwa v28, v41, v28 dst_sel:WORD_1 dst_unused:UNUSED_PAD src0_sel:BYTE_0 src1_sel:DWORD
	v_cmp_ne_u32_e32 vcc, 16, v24
	v_or_b32_sdwa v27, v27, v28 dst_sel:DWORD dst_unused:UNUSED_PAD src0_sel:WORD_0 src1_sel:DWORD
	;; [unrolled: 16-line block ×5, first 2 shown]
	v_cndmask_b32_e32 v43, 17, v21, vcc
	v_lshrrev_b32_e32 v44, 8, v21
	v_cmp_ne_u32_e32 vcc, 5, v24
	v_cndmask_b32_e32 v44, 17, v44, vcc
	v_lshlrev_b16_e32 v44, 8, v44
	v_or_b32_sdwa v43, v43, v44 dst_sel:DWORD dst_unused:UNUSED_PAD src0_sel:BYTE_0 src1_sel:DWORD
	v_lshrrev_b32_e32 v44, 24, v21
	v_cmp_ne_u32_e32 vcc, 7, v24
	v_cndmask_b32_e32 v44, 17, v44, vcc
	v_lshrrev_b32_e32 v45, 16, v21
	v_cmp_ne_u32_e32 vcc, 6, v24
	v_and_b32_e32 v25, 0x20000, v17
	v_lshlrev_b16_e32 v44, 8, v44
	v_cndmask_b32_e32 v45, 17, v45, vcc
	v_or_b32_sdwa v44, v45, v44 dst_sel:WORD_1 dst_unused:UNUSED_PAD src0_sel:BYTE_0 src1_sel:DWORD
	v_cmp_eq_u32_e32 vcc, 0, v25
	v_bfe_u32 v25, v17, 17, 1
	v_or_b32_sdwa v43, v43, v44 dst_sel:DWORD dst_unused:UNUSED_PAD src0_sel:WORD_0 src1_sel:DWORD
	v_add_u32_e32 v24, v24, v25
	v_cndmask_b32_e32 v20, v26, v20, vcc
	v_cndmask_b32_e32 v21, v43, v21, vcc
	;; [unrolled: 1-line block ×6, first 2 shown]
	v_cmp_ne_u32_e32 vcc, 0, v24
	v_cndmask_b32_e32 v26, 18, v20, vcc
	v_lshrrev_b32_e32 v27, 8, v20
	v_cmp_ne_u32_e32 vcc, 1, v24
	v_cndmask_b32_e32 v27, 18, v27, vcc
	v_lshlrev_b16_e32 v27, 8, v27
	v_or_b32_sdwa v26, v26, v27 dst_sel:DWORD dst_unused:UNUSED_PAD src0_sel:BYTE_0 src1_sel:DWORD
	v_lshrrev_b32_e32 v27, 24, v20
	v_cmp_ne_u32_e32 vcc, 3, v24
	v_cndmask_b32_e32 v27, 18, v27, vcc
	v_lshrrev_b32_e32 v28, 16, v20
	v_cmp_ne_u32_e32 vcc, 2, v24
	v_lshlrev_b16_e32 v27, 8, v27
	v_cndmask_b32_e32 v28, 18, v28, vcc
	v_or_b32_sdwa v27, v28, v27 dst_sel:WORD_1 dst_unused:UNUSED_PAD src0_sel:BYTE_0 src1_sel:DWORD
	v_cmp_ne_u32_e32 vcc, 20, v24
	v_or_b32_sdwa v26, v26, v27 dst_sel:DWORD dst_unused:UNUSED_PAD src0_sel:WORD_0 src1_sel:DWORD
	v_cndmask_b32_e32 v27, 18, v23, vcc
	v_lshrrev_b32_e32 v28, 8, v23
	v_cmp_ne_u32_e32 vcc, 21, v24
	v_cndmask_b32_e32 v28, 18, v28, vcc
	v_lshlrev_b16_e32 v28, 8, v28
	v_or_b32_sdwa v27, v27, v28 dst_sel:DWORD dst_unused:UNUSED_PAD src0_sel:BYTE_0 src1_sel:DWORD
	v_lshrrev_b32_e32 v28, 24, v23
	v_cmp_ne_u32_e32 vcc, 23, v24
	v_cndmask_b32_e32 v28, 18, v28, vcc
	v_lshrrev_b32_e32 v41, 16, v23
	v_cmp_ne_u32_e32 vcc, 22, v24
	v_lshlrev_b16_e32 v28, 8, v28
	v_cndmask_b32_e32 v41, 18, v41, vcc
	v_or_b32_sdwa v28, v41, v28 dst_sel:WORD_1 dst_unused:UNUSED_PAD src0_sel:BYTE_0 src1_sel:DWORD
	v_cmp_ne_u32_e32 vcc, 16, v24
	v_or_b32_sdwa v27, v27, v28 dst_sel:DWORD dst_unused:UNUSED_PAD src0_sel:WORD_0 src1_sel:DWORD
	;; [unrolled: 16-line block ×5, first 2 shown]
	v_cndmask_b32_e32 v43, 18, v21, vcc
	v_lshrrev_b32_e32 v44, 8, v21
	v_cmp_ne_u32_e32 vcc, 5, v24
	v_cndmask_b32_e32 v44, 18, v44, vcc
	v_lshlrev_b16_e32 v44, 8, v44
	v_or_b32_sdwa v43, v43, v44 dst_sel:DWORD dst_unused:UNUSED_PAD src0_sel:BYTE_0 src1_sel:DWORD
	v_lshrrev_b32_e32 v44, 24, v21
	v_cmp_ne_u32_e32 vcc, 7, v24
	v_cndmask_b32_e32 v44, 18, v44, vcc
	v_lshrrev_b32_e32 v45, 16, v21
	v_cmp_ne_u32_e32 vcc, 6, v24
	v_and_b32_e32 v25, 0x40000, v17
	v_lshlrev_b16_e32 v44, 8, v44
	v_cndmask_b32_e32 v45, 18, v45, vcc
	v_or_b32_sdwa v44, v45, v44 dst_sel:WORD_1 dst_unused:UNUSED_PAD src0_sel:BYTE_0 src1_sel:DWORD
	v_cmp_eq_u32_e32 vcc, 0, v25
	v_bfe_u32 v25, v17, 18, 1
	v_or_b32_sdwa v43, v43, v44 dst_sel:DWORD dst_unused:UNUSED_PAD src0_sel:WORD_0 src1_sel:DWORD
	v_add_u32_e32 v24, v24, v25
	v_cndmask_b32_e32 v20, v26, v20, vcc
	v_cndmask_b32_e32 v21, v43, v21, vcc
	;; [unrolled: 1-line block ×6, first 2 shown]
	v_cmp_ne_u32_e32 vcc, 0, v24
	v_cndmask_b32_e32 v26, 19, v20, vcc
	v_lshrrev_b32_e32 v27, 8, v20
	v_cmp_ne_u32_e32 vcc, 1, v24
	v_cndmask_b32_e32 v27, 19, v27, vcc
	v_lshlrev_b16_e32 v27, 8, v27
	v_or_b32_sdwa v26, v26, v27 dst_sel:DWORD dst_unused:UNUSED_PAD src0_sel:BYTE_0 src1_sel:DWORD
	v_lshrrev_b32_e32 v27, 24, v20
	v_cmp_ne_u32_e32 vcc, 3, v24
	v_cndmask_b32_e32 v27, 19, v27, vcc
	v_lshrrev_b32_e32 v28, 16, v20
	v_cmp_ne_u32_e32 vcc, 2, v24
	v_lshlrev_b16_e32 v27, 8, v27
	v_cndmask_b32_e32 v28, 19, v28, vcc
	v_or_b32_sdwa v27, v28, v27 dst_sel:WORD_1 dst_unused:UNUSED_PAD src0_sel:BYTE_0 src1_sel:DWORD
	v_cmp_ne_u32_e32 vcc, 20, v24
	v_or_b32_sdwa v26, v26, v27 dst_sel:DWORD dst_unused:UNUSED_PAD src0_sel:WORD_0 src1_sel:DWORD
	v_cndmask_b32_e32 v27, 19, v23, vcc
	v_lshrrev_b32_e32 v28, 8, v23
	v_cmp_ne_u32_e32 vcc, 21, v24
	v_cndmask_b32_e32 v28, 19, v28, vcc
	v_lshlrev_b16_e32 v28, 8, v28
	v_or_b32_sdwa v27, v27, v28 dst_sel:DWORD dst_unused:UNUSED_PAD src0_sel:BYTE_0 src1_sel:DWORD
	v_lshrrev_b32_e32 v28, 24, v23
	v_cmp_ne_u32_e32 vcc, 23, v24
	v_cndmask_b32_e32 v28, 19, v28, vcc
	v_lshrrev_b32_e32 v41, 16, v23
	v_cmp_ne_u32_e32 vcc, 22, v24
	v_lshlrev_b16_e32 v28, 8, v28
	v_cndmask_b32_e32 v41, 19, v41, vcc
	v_or_b32_sdwa v28, v41, v28 dst_sel:WORD_1 dst_unused:UNUSED_PAD src0_sel:BYTE_0 src1_sel:DWORD
	v_cmp_ne_u32_e32 vcc, 16, v24
	v_or_b32_sdwa v27, v27, v28 dst_sel:DWORD dst_unused:UNUSED_PAD src0_sel:WORD_0 src1_sel:DWORD
	;; [unrolled: 16-line block ×5, first 2 shown]
	v_cndmask_b32_e32 v43, 19, v21, vcc
	v_lshrrev_b32_e32 v44, 8, v21
	v_cmp_ne_u32_e32 vcc, 5, v24
	v_cndmask_b32_e32 v44, 19, v44, vcc
	v_lshlrev_b16_e32 v44, 8, v44
	v_or_b32_sdwa v43, v43, v44 dst_sel:DWORD dst_unused:UNUSED_PAD src0_sel:BYTE_0 src1_sel:DWORD
	v_lshrrev_b32_e32 v44, 24, v21
	v_cmp_ne_u32_e32 vcc, 7, v24
	v_cndmask_b32_e32 v44, 19, v44, vcc
	v_lshrrev_b32_e32 v45, 16, v21
	v_cmp_ne_u32_e32 vcc, 6, v24
	v_and_b32_e32 v25, 0x80000, v17
	v_lshlrev_b16_e32 v44, 8, v44
	v_cndmask_b32_e32 v45, 19, v45, vcc
	v_or_b32_sdwa v44, v45, v44 dst_sel:WORD_1 dst_unused:UNUSED_PAD src0_sel:BYTE_0 src1_sel:DWORD
	v_cmp_eq_u32_e32 vcc, 0, v25
	v_bfe_u32 v25, v17, 19, 1
	v_or_b32_sdwa v43, v43, v44 dst_sel:DWORD dst_unused:UNUSED_PAD src0_sel:WORD_0 src1_sel:DWORD
	v_add_u32_e32 v24, v24, v25
	v_cndmask_b32_e32 v20, v26, v20, vcc
	v_cndmask_b32_e32 v21, v43, v21, vcc
	;; [unrolled: 1-line block ×6, first 2 shown]
	v_cmp_ne_u32_e32 vcc, 0, v24
	v_cndmask_b32_e32 v26, 20, v20, vcc
	v_lshrrev_b32_e32 v27, 8, v20
	v_cmp_ne_u32_e32 vcc, 1, v24
	v_cndmask_b32_e32 v27, 20, v27, vcc
	v_lshlrev_b16_e32 v27, 8, v27
	v_or_b32_sdwa v26, v26, v27 dst_sel:DWORD dst_unused:UNUSED_PAD src0_sel:BYTE_0 src1_sel:DWORD
	v_lshrrev_b32_e32 v27, 24, v20
	v_cmp_ne_u32_e32 vcc, 3, v24
	v_cndmask_b32_e32 v27, 20, v27, vcc
	v_lshrrev_b32_e32 v28, 16, v20
	v_cmp_ne_u32_e32 vcc, 2, v24
	v_lshlrev_b16_e32 v27, 8, v27
	v_cndmask_b32_e32 v28, 20, v28, vcc
	v_or_b32_sdwa v27, v28, v27 dst_sel:WORD_1 dst_unused:UNUSED_PAD src0_sel:BYTE_0 src1_sel:DWORD
	v_cmp_ne_u32_e32 vcc, 20, v24
	v_or_b32_sdwa v26, v26, v27 dst_sel:DWORD dst_unused:UNUSED_PAD src0_sel:WORD_0 src1_sel:DWORD
	v_cndmask_b32_e32 v27, 20, v23, vcc
	v_lshrrev_b32_e32 v28, 8, v23
	v_cmp_ne_u32_e32 vcc, 21, v24
	v_cndmask_b32_e32 v28, 20, v28, vcc
	v_lshlrev_b16_e32 v28, 8, v28
	v_or_b32_sdwa v27, v27, v28 dst_sel:DWORD dst_unused:UNUSED_PAD src0_sel:BYTE_0 src1_sel:DWORD
	v_lshrrev_b32_e32 v28, 24, v23
	v_cmp_ne_u32_e32 vcc, 23, v24
	v_cndmask_b32_e32 v28, 20, v28, vcc
	v_lshrrev_b32_e32 v41, 16, v23
	v_cmp_ne_u32_e32 vcc, 22, v24
	v_lshlrev_b16_e32 v28, 8, v28
	v_cndmask_b32_e32 v41, 20, v41, vcc
	v_or_b32_sdwa v28, v41, v28 dst_sel:WORD_1 dst_unused:UNUSED_PAD src0_sel:BYTE_0 src1_sel:DWORD
	v_cmp_ne_u32_e32 vcc, 16, v24
	v_or_b32_sdwa v27, v27, v28 dst_sel:DWORD dst_unused:UNUSED_PAD src0_sel:WORD_0 src1_sel:DWORD
	;; [unrolled: 16-line block ×5, first 2 shown]
	v_cndmask_b32_e32 v43, 20, v21, vcc
	v_lshrrev_b32_e32 v44, 8, v21
	v_cmp_ne_u32_e32 vcc, 5, v24
	v_cndmask_b32_e32 v44, 20, v44, vcc
	v_lshlrev_b16_e32 v44, 8, v44
	v_or_b32_sdwa v43, v43, v44 dst_sel:DWORD dst_unused:UNUSED_PAD src0_sel:BYTE_0 src1_sel:DWORD
	v_lshrrev_b32_e32 v44, 24, v21
	v_cmp_ne_u32_e32 vcc, 7, v24
	v_cndmask_b32_e32 v44, 20, v44, vcc
	v_lshrrev_b32_e32 v45, 16, v21
	v_cmp_ne_u32_e32 vcc, 6, v24
	v_and_b32_e32 v25, 0x100000, v17
	v_lshlrev_b16_e32 v44, 8, v44
	v_cndmask_b32_e32 v45, 20, v45, vcc
	v_or_b32_sdwa v44, v45, v44 dst_sel:WORD_1 dst_unused:UNUSED_PAD src0_sel:BYTE_0 src1_sel:DWORD
	v_cmp_eq_u32_e32 vcc, 0, v25
	v_bfe_u32 v25, v17, 20, 1
	v_or_b32_sdwa v43, v43, v44 dst_sel:DWORD dst_unused:UNUSED_PAD src0_sel:WORD_0 src1_sel:DWORD
	v_add_u32_e32 v24, v24, v25
	v_cndmask_b32_e32 v20, v26, v20, vcc
	v_cndmask_b32_e32 v21, v43, v21, vcc
	;; [unrolled: 1-line block ×6, first 2 shown]
	v_cmp_ne_u32_e32 vcc, 0, v24
	v_cndmask_b32_e32 v26, 21, v20, vcc
	v_lshrrev_b32_e32 v27, 8, v20
	v_cmp_ne_u32_e32 vcc, 1, v24
	v_cndmask_b32_e32 v27, 21, v27, vcc
	v_lshlrev_b16_e32 v27, 8, v27
	v_or_b32_sdwa v26, v26, v27 dst_sel:DWORD dst_unused:UNUSED_PAD src0_sel:BYTE_0 src1_sel:DWORD
	v_lshrrev_b32_e32 v27, 24, v20
	v_cmp_ne_u32_e32 vcc, 3, v24
	v_cndmask_b32_e32 v27, 21, v27, vcc
	v_lshrrev_b32_e32 v28, 16, v20
	v_cmp_ne_u32_e32 vcc, 2, v24
	v_lshlrev_b16_e32 v27, 8, v27
	v_cndmask_b32_e32 v28, 21, v28, vcc
	v_or_b32_sdwa v27, v28, v27 dst_sel:WORD_1 dst_unused:UNUSED_PAD src0_sel:BYTE_0 src1_sel:DWORD
	v_cmp_ne_u32_e32 vcc, 20, v24
	v_or_b32_sdwa v26, v26, v27 dst_sel:DWORD dst_unused:UNUSED_PAD src0_sel:WORD_0 src1_sel:DWORD
	v_cndmask_b32_e32 v27, 21, v23, vcc
	v_lshrrev_b32_e32 v28, 8, v23
	v_cmp_ne_u32_e32 vcc, 21, v24
	v_cndmask_b32_e32 v28, 21, v28, vcc
	v_lshlrev_b16_e32 v28, 8, v28
	v_or_b32_sdwa v27, v27, v28 dst_sel:DWORD dst_unused:UNUSED_PAD src0_sel:BYTE_0 src1_sel:DWORD
	v_lshrrev_b32_e32 v28, 24, v23
	v_cmp_ne_u32_e32 vcc, 23, v24
	v_cndmask_b32_e32 v28, 21, v28, vcc
	v_lshrrev_b32_e32 v41, 16, v23
	v_cmp_ne_u32_e32 vcc, 22, v24
	v_lshlrev_b16_e32 v28, 8, v28
	v_cndmask_b32_e32 v41, 21, v41, vcc
	v_or_b32_sdwa v28, v41, v28 dst_sel:WORD_1 dst_unused:UNUSED_PAD src0_sel:BYTE_0 src1_sel:DWORD
	v_cmp_ne_u32_e32 vcc, 16, v24
	v_or_b32_sdwa v27, v27, v28 dst_sel:DWORD dst_unused:UNUSED_PAD src0_sel:WORD_0 src1_sel:DWORD
	v_cndmask_b32_e32 v28, 21, v18, vcc
	v_lshrrev_b32_e32 v41, 8, v18
	v_cmp_ne_u32_e32 vcc, 17, v24
	v_cndmask_b32_e32 v41, 21, v41, vcc
	v_lshlrev_b16_e32 v41, 8, v41
	v_or_b32_sdwa v28, v28, v41 dst_sel:DWORD dst_unused:UNUSED_PAD src0_sel:BYTE_0 src1_sel:DWORD
	v_lshrrev_b32_e32 v41, 24, v18
	v_cmp_ne_u32_e32 vcc, 19, v24
	v_cndmask_b32_e32 v41, 21, v41, vcc
	v_lshrrev_b32_e32 v42, 16, v18
	v_cmp_ne_u32_e32 vcc, 18, v24
	v_lshlrev_b16_e32 v41, 8, v41
	v_cndmask_b32_e32 v42, 21, v42, vcc
	v_or_b32_sdwa v41, v42, v41 dst_sel:WORD_1 dst_unused:UNUSED_PAD src0_sel:BYTE_0 src1_sel:DWORD
	v_cmp_ne_u32_e32 vcc, 12, v24
	v_or_b32_sdwa v28, v28, v41 dst_sel:DWORD dst_unused:UNUSED_PAD src0_sel:WORD_0 src1_sel:DWORD
	v_cndmask_b32_e32 v41, 21, v22, vcc
	v_lshrrev_b32_e32 v42, 8, v22
	v_cmp_ne_u32_e32 vcc, 13, v24
	v_cndmask_b32_e32 v42, 21, v42, vcc
	v_lshlrev_b16_e32 v42, 8, v42
	v_or_b32_sdwa v41, v41, v42 dst_sel:DWORD dst_unused:UNUSED_PAD src0_sel:BYTE_0 src1_sel:DWORD
	v_lshrrev_b32_e32 v42, 24, v22
	v_cmp_ne_u32_e32 vcc, 15, v24
	v_cndmask_b32_e32 v42, 21, v42, vcc
	v_lshrrev_b32_e32 v43, 16, v22
	v_cmp_ne_u32_e32 vcc, 14, v24
	v_lshlrev_b16_e32 v42, 8, v42
	v_cndmask_b32_e32 v43, 21, v43, vcc
	v_or_b32_sdwa v42, v43, v42 dst_sel:WORD_1 dst_unused:UNUSED_PAD src0_sel:BYTE_0 src1_sel:DWORD
	v_cmp_ne_u32_e32 vcc, 8, v24
	v_or_b32_sdwa v41, v41, v42 dst_sel:DWORD dst_unused:UNUSED_PAD src0_sel:WORD_0 src1_sel:DWORD
	v_cndmask_b32_e32 v42, 21, v19, vcc
	v_lshrrev_b32_e32 v43, 8, v19
	v_cmp_ne_u32_e32 vcc, 9, v24
	v_cndmask_b32_e32 v43, 21, v43, vcc
	v_lshlrev_b16_e32 v43, 8, v43
	v_or_b32_sdwa v42, v42, v43 dst_sel:DWORD dst_unused:UNUSED_PAD src0_sel:BYTE_0 src1_sel:DWORD
	v_lshrrev_b32_e32 v43, 24, v19
	v_cmp_ne_u32_e32 vcc, 11, v24
	v_cndmask_b32_e32 v43, 21, v43, vcc
	v_lshrrev_b32_e32 v44, 16, v19
	v_cmp_ne_u32_e32 vcc, 10, v24
	v_lshlrev_b16_e32 v43, 8, v43
	v_cndmask_b32_e32 v44, 21, v44, vcc
	v_or_b32_sdwa v43, v44, v43 dst_sel:WORD_1 dst_unused:UNUSED_PAD src0_sel:BYTE_0 src1_sel:DWORD
	v_cmp_ne_u32_e32 vcc, 4, v24
	v_or_b32_sdwa v42, v42, v43 dst_sel:DWORD dst_unused:UNUSED_PAD src0_sel:WORD_0 src1_sel:DWORD
	v_cndmask_b32_e32 v43, 21, v21, vcc
	v_lshrrev_b32_e32 v44, 8, v21
	v_cmp_ne_u32_e32 vcc, 5, v24
	v_cndmask_b32_e32 v44, 21, v44, vcc
	v_lshlrev_b16_e32 v44, 8, v44
	v_or_b32_sdwa v43, v43, v44 dst_sel:DWORD dst_unused:UNUSED_PAD src0_sel:BYTE_0 src1_sel:DWORD
	v_lshrrev_b32_e32 v44, 24, v21
	v_cmp_ne_u32_e32 vcc, 7, v24
	v_cndmask_b32_e32 v44, 21, v44, vcc
	v_lshrrev_b32_e32 v45, 16, v21
	v_cmp_ne_u32_e32 vcc, 6, v24
	v_and_b32_e32 v25, 0x200000, v17
	v_lshlrev_b16_e32 v44, 8, v44
	v_cndmask_b32_e32 v45, 21, v45, vcc
	v_or_b32_sdwa v44, v45, v44 dst_sel:WORD_1 dst_unused:UNUSED_PAD src0_sel:BYTE_0 src1_sel:DWORD
	v_cmp_eq_u32_e32 vcc, 0, v25
	v_bfe_u32 v25, v17, 21, 1
	v_or_b32_sdwa v43, v43, v44 dst_sel:DWORD dst_unused:UNUSED_PAD src0_sel:WORD_0 src1_sel:DWORD
	v_add_u32_e32 v24, v24, v25
	v_cndmask_b32_e32 v20, v26, v20, vcc
	v_cndmask_b32_e32 v21, v43, v21, vcc
	;; [unrolled: 1-line block ×6, first 2 shown]
	v_cmp_ne_u32_e32 vcc, 0, v24
	v_cndmask_b32_e32 v26, 22, v20, vcc
	v_lshrrev_b32_e32 v27, 8, v20
	v_cmp_ne_u32_e32 vcc, 1, v24
	v_cndmask_b32_e32 v27, 22, v27, vcc
	v_lshlrev_b16_e32 v27, 8, v27
	v_or_b32_sdwa v26, v26, v27 dst_sel:DWORD dst_unused:UNUSED_PAD src0_sel:BYTE_0 src1_sel:DWORD
	v_lshrrev_b32_e32 v27, 24, v20
	v_cmp_ne_u32_e32 vcc, 3, v24
	v_cndmask_b32_e32 v27, 22, v27, vcc
	v_lshrrev_b32_e32 v28, 16, v20
	v_cmp_ne_u32_e32 vcc, 2, v24
	v_lshlrev_b16_e32 v27, 8, v27
	v_cndmask_b32_e32 v28, 22, v28, vcc
	v_or_b32_sdwa v27, v28, v27 dst_sel:WORD_1 dst_unused:UNUSED_PAD src0_sel:BYTE_0 src1_sel:DWORD
	v_cmp_ne_u32_e32 vcc, 20, v24
	v_or_b32_sdwa v26, v26, v27 dst_sel:DWORD dst_unused:UNUSED_PAD src0_sel:WORD_0 src1_sel:DWORD
	v_cndmask_b32_e32 v27, 22, v23, vcc
	v_lshrrev_b32_e32 v28, 8, v23
	v_cmp_ne_u32_e32 vcc, 21, v24
	v_cndmask_b32_e32 v28, 22, v28, vcc
	v_lshlrev_b16_e32 v28, 8, v28
	v_or_b32_sdwa v27, v27, v28 dst_sel:DWORD dst_unused:UNUSED_PAD src0_sel:BYTE_0 src1_sel:DWORD
	v_lshrrev_b32_e32 v28, 24, v23
	v_cmp_ne_u32_e32 vcc, 23, v24
	v_cndmask_b32_e32 v28, 22, v28, vcc
	v_lshrrev_b32_e32 v41, 16, v23
	v_cmp_ne_u32_e32 vcc, 22, v24
	v_lshlrev_b16_e32 v28, 8, v28
	v_cndmask_b32_e32 v41, 22, v41, vcc
	v_or_b32_sdwa v28, v41, v28 dst_sel:WORD_1 dst_unused:UNUSED_PAD src0_sel:BYTE_0 src1_sel:DWORD
	v_cmp_ne_u32_e32 vcc, 16, v24
	v_or_b32_sdwa v27, v27, v28 dst_sel:DWORD dst_unused:UNUSED_PAD src0_sel:WORD_0 src1_sel:DWORD
	v_cndmask_b32_e32 v28, 22, v18, vcc
	v_lshrrev_b32_e32 v41, 8, v18
	v_cmp_ne_u32_e32 vcc, 17, v24
	v_cndmask_b32_e32 v41, 22, v41, vcc
	v_lshlrev_b16_e32 v41, 8, v41
	v_or_b32_sdwa v28, v28, v41 dst_sel:DWORD dst_unused:UNUSED_PAD src0_sel:BYTE_0 src1_sel:DWORD
	v_lshrrev_b32_e32 v41, 24, v18
	v_cmp_ne_u32_e32 vcc, 19, v24
	v_cndmask_b32_e32 v41, 22, v41, vcc
	v_lshrrev_b32_e32 v42, 16, v18
	v_cmp_ne_u32_e32 vcc, 18, v24
	v_lshlrev_b16_e32 v41, 8, v41
	v_cndmask_b32_e32 v42, 22, v42, vcc
	v_or_b32_sdwa v41, v42, v41 dst_sel:WORD_1 dst_unused:UNUSED_PAD src0_sel:BYTE_0 src1_sel:DWORD
	v_cmp_ne_u32_e32 vcc, 12, v24
	v_or_b32_sdwa v28, v28, v41 dst_sel:DWORD dst_unused:UNUSED_PAD src0_sel:WORD_0 src1_sel:DWORD
	v_cndmask_b32_e32 v41, 22, v22, vcc
	v_lshrrev_b32_e32 v42, 8, v22
	v_cmp_ne_u32_e32 vcc, 13, v24
	v_cndmask_b32_e32 v42, 22, v42, vcc
	v_lshlrev_b16_e32 v42, 8, v42
	v_or_b32_sdwa v41, v41, v42 dst_sel:DWORD dst_unused:UNUSED_PAD src0_sel:BYTE_0 src1_sel:DWORD
	v_lshrrev_b32_e32 v42, 24, v22
	v_cmp_ne_u32_e32 vcc, 15, v24
	v_cndmask_b32_e32 v42, 22, v42, vcc
	v_lshrrev_b32_e32 v43, 16, v22
	v_cmp_ne_u32_e32 vcc, 14, v24
	v_lshlrev_b16_e32 v42, 8, v42
	v_cndmask_b32_e32 v43, 22, v43, vcc
	v_or_b32_sdwa v42, v43, v42 dst_sel:WORD_1 dst_unused:UNUSED_PAD src0_sel:BYTE_0 src1_sel:DWORD
	v_cmp_ne_u32_e32 vcc, 8, v24
	v_or_b32_sdwa v41, v41, v42 dst_sel:DWORD dst_unused:UNUSED_PAD src0_sel:WORD_0 src1_sel:DWORD
	v_cndmask_b32_e32 v42, 22, v19, vcc
	v_lshrrev_b32_e32 v43, 8, v19
	v_cmp_ne_u32_e32 vcc, 9, v24
	v_cndmask_b32_e32 v43, 22, v43, vcc
	v_lshlrev_b16_e32 v43, 8, v43
	v_or_b32_sdwa v42, v42, v43 dst_sel:DWORD dst_unused:UNUSED_PAD src0_sel:BYTE_0 src1_sel:DWORD
	v_lshrrev_b32_e32 v43, 24, v19
	v_cmp_ne_u32_e32 vcc, 11, v24
	v_cndmask_b32_e32 v43, 22, v43, vcc
	v_lshrrev_b32_e32 v44, 16, v19
	v_cmp_ne_u32_e32 vcc, 10, v24
	v_lshlrev_b16_e32 v43, 8, v43
	v_cndmask_b32_e32 v44, 22, v44, vcc
	v_or_b32_sdwa v43, v44, v43 dst_sel:WORD_1 dst_unused:UNUSED_PAD src0_sel:BYTE_0 src1_sel:DWORD
	v_cmp_ne_u32_e32 vcc, 4, v24
	v_or_b32_sdwa v42, v42, v43 dst_sel:DWORD dst_unused:UNUSED_PAD src0_sel:WORD_0 src1_sel:DWORD
	v_cndmask_b32_e32 v43, 22, v21, vcc
	v_lshrrev_b32_e32 v44, 8, v21
	v_cmp_ne_u32_e32 vcc, 5, v24
	v_cndmask_b32_e32 v44, 22, v44, vcc
	v_lshlrev_b16_e32 v44, 8, v44
	v_or_b32_sdwa v43, v43, v44 dst_sel:DWORD dst_unused:UNUSED_PAD src0_sel:BYTE_0 src1_sel:DWORD
	v_lshrrev_b32_e32 v44, 24, v21
	v_cmp_ne_u32_e32 vcc, 7, v24
	v_and_b32_e32 v25, 0x400000, v17
	v_cndmask_b32_e32 v44, 22, v44, vcc
	v_lshrrev_b32_e32 v45, 16, v21
	v_cmp_ne_u32_e32 vcc, 6, v24
	v_lshlrev_b16_e32 v44, 8, v44
	v_cndmask_b32_e32 v45, 22, v45, vcc
	v_cmp_eq_u32_e32 vcc, 0, v25
	v_or_b32_sdwa v44, v45, v44 dst_sel:WORD_1 dst_unused:UNUSED_PAD src0_sel:BYTE_0 src1_sel:DWORD
	v_cndmask_b32_e32 v20, v26, v20, vcc
	v_cndmask_b32_e32 v26, v28, v18, vcc
	v_bfe_u32 v18, v17, 22, 1
	v_or_b32_sdwa v43, v43, v44 dst_sel:DWORD dst_unused:UNUSED_PAD src0_sel:WORD_0 src1_sel:DWORD
	v_add_u32_e32 v28, v24, v18
	v_cndmask_b32_e32 v21, v43, v21, vcc
	v_cndmask_b32_e32 v25, v42, v19, vcc
	;; [unrolled: 1-line block ×4, first 2 shown]
	v_cmp_ne_u32_e32 vcc, 0, v28
	v_cndmask_b32_e32 v19, 23, v20, vcc
	v_lshrrev_b32_e32 v23, 8, v20
	v_cmp_ne_u32_e32 vcc, 1, v28
	v_cndmask_b32_e32 v23, 23, v23, vcc
	v_lshlrev_b16_e32 v23, 8, v23
	v_or_b32_sdwa v19, v19, v23 dst_sel:DWORD dst_unused:UNUSED_PAD src0_sel:BYTE_0 src1_sel:DWORD
	v_lshrrev_b32_e32 v23, 24, v20
	v_cmp_ne_u32_e32 vcc, 3, v28
	v_cndmask_b32_e32 v23, 23, v23, vcc
	v_lshrrev_b32_e32 v24, 16, v20
	v_cmp_ne_u32_e32 vcc, 2, v28
	v_lshlrev_b16_e32 v23, 8, v23
	v_cndmask_b32_e32 v24, 23, v24, vcc
	v_or_b32_sdwa v23, v24, v23 dst_sel:WORD_1 dst_unused:UNUSED_PAD src0_sel:BYTE_0 src1_sel:DWORD
	v_cmp_ne_u32_e32 vcc, 20, v28
	v_or_b32_sdwa v19, v19, v23 dst_sel:DWORD dst_unused:UNUSED_PAD src0_sel:WORD_0 src1_sel:DWORD
	v_cndmask_b32_e32 v23, 23, v27, vcc
	v_lshrrev_b32_e32 v24, 8, v27
	v_cmp_ne_u32_e32 vcc, 21, v28
	v_cndmask_b32_e32 v24, 23, v24, vcc
	v_lshlrev_b16_e32 v24, 8, v24
	v_or_b32_sdwa v23, v23, v24 dst_sel:DWORD dst_unused:UNUSED_PAD src0_sel:BYTE_0 src1_sel:DWORD
	v_lshrrev_b32_e32 v24, 24, v27
	v_cmp_ne_u32_e32 vcc, 23, v28
	v_cndmask_b32_e32 v24, 23, v24, vcc
	v_lshrrev_b32_e32 v41, 16, v27
	v_cmp_ne_u32_e32 vcc, 22, v28
	v_lshlrev_b16_e32 v24, 8, v24
	v_cndmask_b32_e32 v41, 23, v41, vcc
	v_or_b32_sdwa v24, v41, v24 dst_sel:WORD_1 dst_unused:UNUSED_PAD src0_sel:BYTE_0 src1_sel:DWORD
	v_cmp_ne_u32_e32 vcc, 16, v28
	v_or_b32_sdwa v41, v23, v24 dst_sel:DWORD dst_unused:UNUSED_PAD src0_sel:WORD_0 src1_sel:DWORD
	;; [unrolled: 16-line block ×5, first 2 shown]
	v_cndmask_b32_e32 v43, 23, v21, vcc
	v_lshrrev_b32_e32 v44, 8, v21
	v_cmp_ne_u32_e32 vcc, 5, v28
	v_cndmask_b32_e32 v44, 23, v44, vcc
	v_lshlrev_b16_e32 v44, 8, v44
	v_or_b32_sdwa v43, v43, v44 dst_sel:DWORD dst_unused:UNUSED_PAD src0_sel:BYTE_0 src1_sel:DWORD
	v_lshrrev_b32_e32 v44, 24, v21
	v_cmp_ne_u32_e32 vcc, 7, v28
	v_cndmask_b32_e32 v44, 23, v44, vcc
	v_lshrrev_b32_e32 v45, 16, v21
	v_cmp_ne_u32_e32 vcc, 6, v28
	v_lshlrev_b16_e32 v44, 8, v44
	v_cndmask_b32_e32 v45, 23, v45, vcc
	v_and_b32_e32 v18, 0x800000, v17
	v_or_b32_sdwa v44, v45, v44 dst_sel:WORD_1 dst_unused:UNUSED_PAD src0_sel:BYTE_0 src1_sel:DWORD
	v_or_b32_sdwa v43, v43, v44 dst_sel:DWORD dst_unused:UNUSED_PAD src0_sel:WORD_0 src1_sel:DWORD
	v_cmp_eq_u32_e32 vcc, 0, v18
	v_cndmask_b32_e32 v18, v19, v20, vcc
	v_cndmask_b32_e32 v19, v43, v21, vcc
	v_lshrrev_b64 v[20:21], 24, v[18:19]
	v_cndmask_b32_e32 v21, v24, v25, vcc
	v_cndmask_b32_e32 v22, v23, v22, vcc
	v_lshrrev_b64 v[23:24], 24, v[21:22]
	;; [unrolled: 3-line block ×3, first 2 shown]
	v_bfe_u32 v17, v17, 23, 1
	v_add_u32_e32 v27, v28, v17
	v_lshrrev_b32_e32 v69, 16, v18
	v_lshrrev_b32_e32 v67, 8, v18
	;; [unrolled: 1-line block ×15, first 2 shown]
	v_cmp_ne_u32_e32 vcc, 0, v27
	s_and_saveexec_b64 s[6:7], vcc
	s_cbranch_execz .LBB0_317
; %bb.288:
	v_add_f64 v[43:44], v[35:36], v[35:36]
	s_mov_b32 s10, 0
	s_mov_b32 s12, 0x55555555
	v_mov_b32_e32 v28, 0
	s_mov_b64 s[8:9], 0
	s_mov_b32 s11, 0x3fd00000
	s_mov_b32 s13, 0x3fd55555
	v_mov_b32_e32 v17, 0xd0
	v_mul_f64 v[41:42], v[43:44], 0.5
	v_fma_f64 v[47:48], v[43:44], 0.5, 0
	v_mov_b32_e32 v63, 3
	s_mov_b64 s[14:15], 0
	v_fma_f64 v[45:46], v[41:42], 0.5, v[7:8]
	v_fma_f64 v[47:48], v[43:44], 0.5, v[47:48]
	v_fma_f64 v[49:50], v[41:42], v[45:46], 0
	v_fma_f64 v[43:44], v[43:44], 0.5, v[47:48]
	v_fma_f64 v[49:50], v[41:42], v[45:46], v[49:50]
	v_fma_f64 v[45:46], v[41:42], v[45:46], v[49:50]
	s_branch .LBB0_291
.LBB0_289:                              ;   in Loop: Header=BB0_291 Depth=1
	s_or_b64 exec, exec, s[18:19]
	v_mov_b32_e32 v68, v64
	v_mov_b32_e32 v64, v66
.LBB0_290:                              ;   in Loop: Header=BB0_291 Depth=1
	s_or_b64 exec, exec, s[16:17]
	v_lshl_add_u32 v66, v64, 3, v17
	buffer_load_dword v65, v66, s[0:3], 0 offen offset:68
	buffer_load_dword v64, v66, s[0:3], 0 offen offset:64
	v_lshl_add_u32 v68, v68, 3, v17
	buffer_load_dword v85, v66, s[0:3], 0 offen offset:4
	buffer_load_dword v87, v68, s[0:3], 0 offen offset:68
	;; [unrolled: 1-line block ×3, first 2 shown]
	buffer_load_dword v84, v66, s[0:3], 0 offen
	buffer_load_dword v88, v68, s[0:3], 0 offen
	buffer_load_dword v89, v68, s[0:3], 0 offen offset:4
	s_waitcnt vmcnt(20)
	v_add_f64 v[47:48], v[47:48], v[53:54]
	s_waitcnt vmcnt(12)
	v_add_f64 v[53:54], v[55:56], v[61:62]
	s_add_u32 s14, s14, 1
	s_addc_u32 s15, s15, 0
	v_cmp_eq_u64_e32 vcc, s[14:15], v[27:28]
	ds_write2_b64 v0, v[35:36], v[35:36] offset0:20 offset1:22
	s_or_b64 s[8:9], vcc, s[8:9]
	v_add_f64 v[47:48], v[47:48], v[51:52]
	s_waitcnt vmcnt(10)
	v_add_f64 v[51:52], v[53:54], v[59:60]
	v_add_f64 v[47:48], v[47:48], v[49:50]
	s_waitcnt vmcnt(8)
	v_add_f64 v[49:50], v[51:52], v[57:58]
	v_fma_f64 v[47:48], v[47:48], s[10:11], -v[1:2]
	v_fma_f64 v[49:50], v[49:50], s[10:11], -v[5:6]
	v_mul_f64 v[47:48], v[33:34], v[47:48]
	s_waitcnt vmcnt(3)
	v_add_f64 v[53:54], v[86:87], -v[5:6]
	v_add_f64 v[51:52], v[64:65], -v[5:6]
	s_waitcnt vmcnt(2)
	v_add_f64 v[55:56], v[84:85], -v[1:2]
	s_waitcnt vmcnt(0)
	v_add_f64 v[57:58], v[88:89], -v[1:2]
	v_mul_f64 v[59:60], v[31:32], v[53:54]
	v_mul_f64 v[51:52], v[31:32], v[51:52]
	v_fma_f64 v[61:62], -v[33:34], v[55:56], v[47:48]
	v_mul_f64 v[84:85], v[33:34], v[57:58]
	v_fma_f64 v[86:87], v[33:34], v[57:58], v[47:48]
	v_fma_f64 v[57:58], v[33:34], v[57:58], -v[47:48]
	v_fma_f64 v[90:91], v[33:34], v[55:56], v[47:48]
	v_fma_f64 v[88:89], v[31:32], v[49:50], v[59:60]
	;; [unrolled: 1-line block ×4, first 2 shown]
	v_fma_f64 v[92:93], v[33:34], v[55:56], -v[84:85]
	v_fma_f64 v[86:87], v[37:38], v[86:87], v[1:2]
	ds_write2_b64 v0, v[59:60], v[51:52] offset0:10 offset1:12
	v_mul_f64 v[61:62], v[61:62], v[64:65]
	v_fma_f64 v[64:65], v[39:40], v[64:65], v[5:6]
	v_fma_f64 v[86:87], v[41:42], v[86:87], 0
	;; [unrolled: 1-line block ×6, first 2 shown]
	v_mul_f64 v[55:56], v[33:34], v[55:56]
	v_fma_f64 v[57:58], v[92:93], v[53:54], v[57:58]
	v_fma_f64 v[61:62], v[41:42], v[61:62], 0
	;; [unrolled: 1-line block ×5, first 2 shown]
	ds_write2_b64 v0, v[84:85], v[55:56] offset1:2
	v_mul_f64 v[57:58], v[57:58], 0.5
	v_fma_f64 v[61:62], v[41:42], v[64:65], v[61:62]
	v_fma_f64 v[64:65], v[41:42], v[90:91], v[86:87]
	v_mul_f64 v[57:58], v[57:58], s[12:13]
	v_fma_f64 v[53:54], v[41:42], v[53:54], v[61:62]
	v_fma_f64 v[61:62], v[43:44], v[57:58], 0
	;; [unrolled: 1-line block ×9, first 2 shown]
	s_andn2_b64 exec, exec, s[8:9]
	s_cbranch_execz .LBB0_316
.LBB0_291:                              ; =>This Inner Loop Header: Depth=1
	s_cmp_eq_u32 s14, 1
	s_cselect_b64 vcc, -1, 0
	s_cmp_eq_u32 s14, 2
	v_cndmask_b32_e32 v47, v18, v67, vcc
	s_cselect_b64 vcc, -1, 0
	s_cmp_eq_u32 s14, 3
	v_cndmask_b32_e32 v47, v47, v69, vcc
	;; [unrolled: 3-line block ×22, first 2 shown]
	s_cselect_b64 vcc, -1, 0
	v_cndmask_b32_e32 v68, v47, v82, vcc
	v_bfe_u32 v64, v68, 2, 6
	v_cmp_lt_i32_e32 vcc, 1, v64
                                        ; implicit-def: $vgpr77
                                        ; implicit-def: $vgpr55
                                        ; implicit-def: $vgpr65
                                        ; implicit-def: $vgpr56
                                        ; implicit-def: $vgpr66
                                        ; implicit-def: $vgpr57
                                        ; implicit-def: $vgpr58
	s_and_saveexec_b64 s[16:17], vcc
	s_xor_b64 s[16:17], exec, s[16:17]
	s_cbranch_execz .LBB0_303
; %bb.292:                              ;   in Loop: Header=BB0_291 Depth=1
	v_cmp_lt_i32_e32 vcc, 2, v64
                                        ; implicit-def: $vgpr77
                                        ; implicit-def: $vgpr55
                                        ; implicit-def: $vgpr65
                                        ; implicit-def: $vgpr56
                                        ; implicit-def: $vgpr66
                                        ; implicit-def: $vgpr57
                                        ; implicit-def: $vgpr58
	s_and_saveexec_b64 s[18:19], vcc
	s_xor_b64 s[18:19], exec, s[18:19]
	s_cbranch_execz .LBB0_300
; %bb.293:                              ;   in Loop: Header=BB0_291 Depth=1
	v_cmp_lt_i32_e32 vcc, 3, v64
                                        ; implicit-def: $vgpr77
                                        ; implicit-def: $vgpr55
                                        ; implicit-def: $vgpr65
                                        ; implicit-def: $vgpr56
                                        ; implicit-def: $vgpr66
                                        ; implicit-def: $vgpr57
                                        ; implicit-def: $vgpr58
	s_and_saveexec_b64 s[20:21], vcc
	s_xor_b64 s[20:21], exec, s[20:21]
	s_cbranch_execz .LBB0_297
; %bb.294:                              ;   in Loop: Header=BB0_291 Depth=1
	v_cmp_ne_u32_e32 vcc, 4, v64
	s_and_saveexec_b64 s[22:23], vcc
	s_xor_b64 s[22:23], exec, s[22:23]
	s_or_saveexec_b64 s[22:23], s[22:23]
	v_mov_b32_e32 v64, 4
	v_mov_b32_e32 v66, 6
	;; [unrolled: 1-line block ×8, first 2 shown]
	s_xor_b64 exec, exec, s[22:23]
; %bb.295:                              ;   in Loop: Header=BB0_291 Depth=1
	v_mov_b32_e32 v64, 0
	v_mov_b32_e32 v66, 1
	;; [unrolled: 1-line block ×8, first 2 shown]
; %bb.296:                              ;   in Loop: Header=BB0_291 Depth=1
	s_or_b64 exec, exec, s[22:23]
.LBB0_297:                              ;   in Loop: Header=BB0_291 Depth=1
	s_andn2_saveexec_b64 s[20:21], s[20:21]
; %bb.298:                              ;   in Loop: Header=BB0_291 Depth=1
	v_mov_b32_e32 v64, 2
	v_mov_b32_e32 v66, 3
	;; [unrolled: 1-line block ×8, first 2 shown]
; %bb.299:                              ;   in Loop: Header=BB0_291 Depth=1
	s_or_b64 exec, exec, s[20:21]
.LBB0_300:                              ;   in Loop: Header=BB0_291 Depth=1
	s_andn2_saveexec_b64 s[18:19], s[18:19]
; %bb.301:                              ;   in Loop: Header=BB0_291 Depth=1
	v_mov_b32_e32 v64, 0
	v_mov_b32_e32 v66, 4
	;; [unrolled: 1-line block ×8, first 2 shown]
; %bb.302:                              ;   in Loop: Header=BB0_291 Depth=1
	s_or_b64 exec, exec, s[18:19]
.LBB0_303:                              ;   in Loop: Header=BB0_291 Depth=1
	s_andn2_saveexec_b64 s[16:17], s[16:17]
	s_cbranch_execz .LBB0_307
; %bb.304:                              ;   in Loop: Header=BB0_291 Depth=1
	v_cmp_lt_i32_e32 vcc, 0, v64
	v_mov_b32_e32 v66, 2
	v_mov_b32_e32 v65, 6
	;; [unrolled: 1-line block ×7, first 2 shown]
	s_and_saveexec_b64 s[18:19], vcc
; %bb.305:                              ;   in Loop: Header=BB0_291 Depth=1
	v_mov_b32_e32 v64, 1
	v_mov_b32_e32 v66, 5
	;; [unrolled: 1-line block ×8, first 2 shown]
; %bb.306:                              ;   in Loop: Header=BB0_291 Depth=1
	s_or_b64 exec, exec, s[18:19]
.LBB0_307:                              ;   in Loop: Header=BB0_291 Depth=1
	s_or_b64 exec, exec, s[16:17]
	v_lshl_add_u32 v84, v64, 3, v17
	buffer_load_dword v47, v58, s[0:3], 0 offen
	buffer_load_dword v48, v58, s[0:3], 0 offen offset:4
	buffer_load_dword v53, v57, s[0:3], 0 offen
	buffer_load_dword v54, v57, s[0:3], 0 offen offset:4
	;; [unrolled: 2-line block ×4, first 2 shown]
	v_lshl_add_u32 v85, v66, 3, v17
	v_lshl_add_u32 v86, v65, 3, v17
	;; [unrolled: 1-line block ×3, first 2 shown]
	buffer_load_dword v55, v84, s[0:3], 0 offen offset:64
	buffer_load_dword v56, v84, s[0:3], 0 offen offset:68
	;; [unrolled: 1-line block ×8, first 2 shown]
	v_and_b32_sdwa v84, v68, v63 dst_sel:DWORD dst_unused:UNUSED_PAD src0_sel:BYTE_0 src1_sel:DWORD
	v_cmp_lt_i32_e32 vcc, 1, v84
                                        ; implicit-def: $vgpr68
	s_and_saveexec_b64 s[16:17], vcc
	s_xor_b64 s[16:17], exec, s[16:17]
	s_cbranch_execz .LBB0_313
; %bb.308:                              ;   in Loop: Header=BB0_291 Depth=1
	v_cmp_lt_i32_e32 vcc, 2, v84
	s_and_saveexec_b64 s[18:19], vcc
	s_xor_b64 s[18:19], exec, s[18:19]
; %bb.309:                              ;   in Loop: Header=BB0_291 Depth=1
                                        ; implicit-def: $vgpr65
; %bb.310:                              ;   in Loop: Header=BB0_291 Depth=1
	s_or_saveexec_b64 s[18:19], s[18:19]
	v_mov_b32_e32 v68, v77
	s_xor_b64 exec, exec, s[18:19]
; %bb.311:                              ;   in Loop: Header=BB0_291 Depth=1
	v_mov_b32_e32 v68, v65
	v_mov_b32_e32 v64, v77
; %bb.312:                              ;   in Loop: Header=BB0_291 Depth=1
	s_or_b64 exec, exec, s[18:19]
                                        ; implicit-def: $vgpr66
                                        ; implicit-def: $vgpr65
                                        ; implicit-def: $vgpr84
.LBB0_313:                              ;   in Loop: Header=BB0_291 Depth=1
	s_andn2_saveexec_b64 s[16:17], s[16:17]
	s_cbranch_execz .LBB0_290
; %bb.314:                              ;   in Loop: Header=BB0_291 Depth=1
	v_cmp_eq_u32_e32 vcc, 1, v84
	s_and_saveexec_b64 s[18:19], vcc
	s_cbranch_execz .LBB0_289
; %bb.315:                              ;   in Loop: Header=BB0_291 Depth=1
	v_mov_b32_e32 v64, v66
	v_mov_b32_e32 v66, v65
	s_branch .LBB0_289
.LBB0_316:
	s_or_b64 exec, exec, s[8:9]
	v_mul_f64 v[27:28], v[31:32], v[49:50]
	ds_write2_b64 v0, v[47:48], v[27:28] offset0:1 offset1:11
	ds_write_b64 v0, v[35:36] offset:168
.LBB0_317:
	s_or_b64 exec, exec, s[6:7]
	buffer_load_dword v28, off, s[0:3], 0
	s_waitcnt vmcnt(0)
	v_and_b32_e32 v93, 1, v28
	v_bfe_u32 v17, v28, 1, 1
	v_bfe_u32 v27, v28, 2, 1
	v_add_u32_e32 v92, v17, v93
	v_bfe_u32 v35, v28, 3, 1
	v_add_u32_e32 v91, v92, v27
	;; [unrolled: 2-line block ×21, first 2 shown]
	v_add_u32_e32 v27, v35, v64
	v_bfe_u32 v17, v28, 23, 1
	v_add_u32_e32 v17, v27, v17
	v_cmp_ne_u32_e32 vcc, 0, v17
	s_and_saveexec_b64 s[6:7], vcc
	s_cbranch_execz .LBB0_347
; %bb.318:
	s_mov_b32 s8, 0xc0c0004
	v_perm_b32 v20, v69, v20, s8
	v_perm_b32 v18, v18, v67, s8
	v_lshlrev_b32_e32 v20, 16, v20
	v_lshlrev_b16_e32 v67, 8, v67
	v_or_b32_e32 v18, v18, v20
	v_or_b32_e32 v20, v67, v20
	v_cmp_eq_u32_e32 vcc, 0, v93
	v_cndmask_b32_e32 v18, v20, v18, vcc
	v_perm_b32 v82, v73, v82, s8
	v_perm_b32 v26, v72, v26, s8
	;; [unrolled: 1-line block ×4, first 2 shown]
	v_and_b32_e32 v67, 0xff, v70
	v_and_b32_e32 v70, 0xff, v71
	;; [unrolled: 1-line block ×4, first 2 shown]
	v_lshrrev_b32_e32 v73, 8, v18
	v_cndmask_b32_e32 v73, 1, v73, vcc
	v_cndmask_b32_e64 v20, v18, 1, vcc
	v_lshlrev_b16_e32 v73, 8, v73
	v_or_b32_sdwa v20, v20, v73 dst_sel:DWORD dst_unused:UNUSED_PAD src0_sel:BYTE_0 src1_sel:DWORD
	v_lshrrev_b32_e32 v73, 24, v18
	v_cmp_ne_u32_e32 vcc, 3, v93
	v_cndmask_b32_e32 v73, 1, v73, vcc
	v_lshrrev_b32_e32 v100, 16, v18
	v_cmp_ne_u32_e32 vcc, 2, v93
	v_perm_b32 v25, v25, v83, s8
	v_perm_b32 v22, v22, v80, s8
	v_lshlrev_b16_e32 v73, 8, v73
	v_cndmask_b32_e32 v100, 1, v100, vcc
	v_cmp_ne_u32_e32 vcc, 20, v93
	v_lshl_or_b32 v83, v82, 16, v25
	v_lshl_or_b32 v80, v79, 16, v22
	v_lshrrev_b32_e32 v69, 8, v79
	v_lshrrev_b32_e32 v79, 8, v82
	;; [unrolled: 1-line block ×3, first 2 shown]
	v_or_b32_sdwa v73, v100, v73 dst_sel:WORD_1 dst_unused:UNUSED_PAD src0_sel:BYTE_0 src1_sel:DWORD
	v_cndmask_b32_e32 v25, 1, v25, vcc
	v_cmp_ne_u32_e32 vcc, 21, v93
	v_or_b32_sdwa v20, v20, v73 dst_sel:DWORD dst_unused:UNUSED_PAD src0_sel:WORD_0 src1_sel:DWORD
	v_cndmask_b32_e32 v73, 1, v82, vcc
	v_cmp_ne_u32_e32 vcc, 22, v93
	v_lshlrev_b16_e32 v73, 8, v73
	v_cndmask_b32_e32 v72, 1, v72, vcc
	v_cmp_ne_u32_e32 vcc, 23, v93
	v_lshlrev_b16_e32 v81, 8, v81
	v_or_b32_sdwa v25, v25, v73 dst_sel:DWORD dst_unused:UNUSED_PAD src0_sel:BYTE_0 src1_sel:DWORD
	v_cndmask_b32_e32 v73, 1, v79, vcc
	v_or_b32_sdwa v24, v24, v81 dst_sel:DWORD dst_unused:UNUSED_PAD src0_sel:BYTE_0 src1_sel:DWORD
	v_lshlrev_b16_e32 v73, 8, v73
	v_and_b32_e32 v81, 0xffff, v24
	v_or_b32_sdwa v72, v72, v73 dst_sel:WORD_1 dst_unused:UNUSED_PAD src0_sel:DWORD src1_sel:DWORD
	v_cmp_ne_u32_e32 vcc, 16, v93
	v_or_b32_sdwa v25, v25, v72 dst_sel:DWORD dst_unused:UNUSED_PAD src0_sel:WORD_0 src1_sel:DWORD
	v_cndmask_b32_e32 v24, 1, v24, vcc
	v_lshrrev_b32_e32 v72, 8, v81
	v_cmp_ne_u32_e32 vcc, 17, v93
	v_cndmask_b32_e32 v72, 1, v72, vcc
	v_cmp_ne_u32_e32 vcc, 18, v93
	v_lshl_or_b32 v98, v26, 16, v81
	v_cndmask_b32_e32 v71, 1, v71, vcc
	v_lshrrev_b32_e32 v26, 8, v26
	v_cmp_ne_u32_e32 vcc, 19, v93
	v_cndmask_b32_e32 v26, 1, v26, vcc
	v_lshlrev_b16_e32 v72, 8, v72
	v_lshlrev_b16_e32 v26, 8, v26
	v_cmp_ne_u32_e32 vcc, 12, v93
	v_perm_b32 v19, v19, v76, s8
	v_lshrrev_b32_e32 v76, 8, v22
	v_or_b32_sdwa v24, v24, v72 dst_sel:DWORD dst_unused:UNUSED_PAD src0_sel:BYTE_0 src1_sel:DWORD
	v_or_b32_sdwa v26, v71, v26 dst_sel:WORD_1 dst_unused:UNUSED_PAD src0_sel:DWORD src1_sel:DWORD
	v_cndmask_b32_e32 v22, 1, v22, vcc
	v_cmp_ne_u32_e32 vcc, 13, v93
	v_or_b32_sdwa v24, v24, v26 dst_sel:DWORD dst_unused:UNUSED_PAD src0_sel:WORD_0 src1_sel:DWORD
	v_cndmask_b32_e32 v26, 1, v76, vcc
	v_lshlrev_b16_e32 v26, 8, v26
	v_cmp_ne_u32_e32 vcc, 14, v93
	v_or_b32_sdwa v22, v22, v26 dst_sel:DWORD dst_unused:UNUSED_PAD src0_sel:BYTE_0 src1_sel:DWORD
	v_cndmask_b32_e32 v26, 1, v70, vcc
	v_cmp_ne_u32_e32 vcc, 15, v93
	v_lshlrev_b16_e32 v78, 8, v78
	v_cndmask_b32_e32 v69, 1, v69, vcc
	v_or_b32_sdwa v21, v21, v78 dst_sel:DWORD dst_unused:UNUSED_PAD src0_sel:BYTE_0 src1_sel:DWORD
	v_lshlrev_b16_e32 v69, 8, v69
	v_and_b32_e32 v78, 0xffff, v21
	v_or_b32_sdwa v26, v26, v69 dst_sel:WORD_1 dst_unused:UNUSED_PAD src0_sel:DWORD src1_sel:DWORD
	v_cmp_ne_u32_e32 vcc, 8, v93
	v_or_b32_sdwa v22, v22, v26 dst_sel:DWORD dst_unused:UNUSED_PAD src0_sel:WORD_0 src1_sel:DWORD
	v_cndmask_b32_e32 v21, 1, v21, vcc
	v_lshrrev_b32_e32 v26, 8, v78
	v_cmp_ne_u32_e32 vcc, 9, v93
	v_cndmask_b32_e32 v26, 1, v26, vcc
	v_lshlrev_b16_e32 v26, 8, v26
	v_cmp_ne_u32_e32 vcc, 10, v93
	v_lshl_or_b32 v99, v23, 16, v78
	v_or_b32_sdwa v21, v21, v26 dst_sel:DWORD dst_unused:UNUSED_PAD src0_sel:BYTE_0 src1_sel:DWORD
	v_cndmask_b32_e32 v26, 1, v67, vcc
	v_lshrrev_b32_e32 v23, 8, v23
	v_cmp_ne_u32_e32 vcc, 11, v93
	v_perm_b32 v74, v75, v74, s8
	v_cndmask_b32_e32 v23, 1, v23, vcc
	v_lshlrev_b32_e32 v75, 16, v74
	v_lshlrev_b16_e32 v23, 8, v23
	v_or_b32_e32 v75, v19, v75
	v_or_b32_sdwa v23, v26, v23 dst_sel:WORD_1 dst_unused:UNUSED_PAD src0_sel:DWORD src1_sel:DWORD
	v_or_b32_sdwa v21, v21, v23 dst_sel:DWORD dst_unused:UNUSED_PAD src0_sel:WORD_0 src1_sel:DWORD
	v_lshrrev_b32_e32 v23, 8, v75
	v_cmp_ne_u32_e32 vcc, 5, v93
	v_cndmask_b32_e32 v23, 1, v23, vcc
	v_cmp_ne_u32_e32 vcc, 4, v93
	v_lshlrev_b16_e32 v23, 8, v23
	v_cndmask_b32_e32 v19, 1, v19, vcc
	v_cmp_ne_u32_e32 vcc, 6, v93
	v_or_b32_sdwa v19, v19, v23 dst_sel:DWORD dst_unused:UNUSED_PAD src0_sel:BYTE_0 src1_sel:DWORD
	v_cndmask_b32_e32 v23, 1, v74, vcc
	v_bfe_u32 v26, v74, 8, 8
	v_cmp_ne_u32_e32 vcc, 7, v93
	v_cndmask_b32_e32 v26, 1, v26, vcc
	v_lshlrev_b16_e32 v26, 8, v26
	v_and_b32_e32 v94, 2, v28
	v_or_b32_sdwa v23, v23, v26 dst_sel:WORD_1 dst_unused:UNUSED_PAD src0_sel:BYTE_0 src1_sel:DWORD
	v_or_b32_sdwa v19, v19, v23 dst_sel:DWORD dst_unused:UNUSED_PAD src0_sel:WORD_0 src1_sel:DWORD
	v_cmp_eq_u32_e32 vcc, 0, v94
	v_cndmask_b32_e32 v18, v20, v18, vcc
	v_cndmask_b32_e32 v19, v19, v75, vcc
	;; [unrolled: 1-line block ×6, first 2 shown]
	v_cmp_ne_u32_e32 vcc, 0, v92
	v_cndmask_b32_e32 v24, 2, v18, vcc
	v_lshrrev_b32_e32 v25, 8, v18
	v_cmp_ne_u32_e32 vcc, 1, v92
	v_cndmask_b32_e32 v25, 2, v25, vcc
	v_lshlrev_b16_e32 v25, 8, v25
	v_or_b32_sdwa v24, v24, v25 dst_sel:DWORD dst_unused:UNUSED_PAD src0_sel:BYTE_0 src1_sel:DWORD
	v_lshrrev_b32_e32 v25, 24, v18
	v_cmp_ne_u32_e32 vcc, 3, v92
	v_cndmask_b32_e32 v25, 2, v25, vcc
	v_lshrrev_b32_e32 v26, 16, v18
	v_cmp_ne_u32_e32 vcc, 2, v92
	v_lshlrev_b16_e32 v25, 8, v25
	v_cndmask_b32_e32 v26, 2, v26, vcc
	v_or_b32_sdwa v25, v26, v25 dst_sel:WORD_1 dst_unused:UNUSED_PAD src0_sel:BYTE_0 src1_sel:DWORD
	v_cmp_ne_u32_e32 vcc, 20, v92
	v_or_b32_sdwa v24, v24, v25 dst_sel:DWORD dst_unused:UNUSED_PAD src0_sel:WORD_0 src1_sel:DWORD
	v_cndmask_b32_e32 v25, 2, v23, vcc
	v_lshrrev_b32_e32 v26, 8, v23
	v_cmp_ne_u32_e32 vcc, 21, v92
	v_cndmask_b32_e32 v26, 2, v26, vcc
	v_lshlrev_b16_e32 v26, 8, v26
	v_or_b32_sdwa v25, v25, v26 dst_sel:DWORD dst_unused:UNUSED_PAD src0_sel:BYTE_0 src1_sel:DWORD
	v_lshrrev_b32_e32 v26, 24, v23
	v_cmp_ne_u32_e32 vcc, 23, v92
	v_cndmask_b32_e32 v26, 2, v26, vcc
	v_lshrrev_b32_e32 v67, 16, v23
	v_cmp_ne_u32_e32 vcc, 22, v92
	v_lshlrev_b16_e32 v26, 8, v26
	v_cndmask_b32_e32 v67, 2, v67, vcc
	v_or_b32_sdwa v26, v67, v26 dst_sel:WORD_1 dst_unused:UNUSED_PAD src0_sel:BYTE_0 src1_sel:DWORD
	v_cmp_ne_u32_e32 vcc, 16, v92
	v_or_b32_sdwa v25, v25, v26 dst_sel:DWORD dst_unused:UNUSED_PAD src0_sel:WORD_0 src1_sel:DWORD
	;; [unrolled: 16-line block ×5, first 2 shown]
	v_cndmask_b32_e32 v70, 2, v19, vcc
	v_lshrrev_b32_e32 v71, 8, v19
	v_cmp_ne_u32_e32 vcc, 5, v92
	v_cndmask_b32_e32 v71, 2, v71, vcc
	v_lshlrev_b16_e32 v71, 8, v71
	v_or_b32_sdwa v70, v70, v71 dst_sel:DWORD dst_unused:UNUSED_PAD src0_sel:BYTE_0 src1_sel:DWORD
	v_lshrrev_b32_e32 v71, 24, v19
	v_cmp_ne_u32_e32 vcc, 7, v92
	v_cndmask_b32_e32 v71, 2, v71, vcc
	v_lshrrev_b32_e32 v72, 16, v19
	v_cmp_ne_u32_e32 vcc, 6, v92
	v_lshlrev_b16_e32 v71, 8, v71
	v_cndmask_b32_e32 v72, 2, v72, vcc
	v_and_b32_e32 v95, 4, v28
	v_or_b32_sdwa v71, v72, v71 dst_sel:WORD_1 dst_unused:UNUSED_PAD src0_sel:BYTE_0 src1_sel:DWORD
	v_or_b32_sdwa v70, v70, v71 dst_sel:DWORD dst_unused:UNUSED_PAD src0_sel:WORD_0 src1_sel:DWORD
	v_cmp_eq_u32_e32 vcc, 0, v95
	v_cndmask_b32_e32 v18, v24, v18, vcc
	v_cndmask_b32_e32 v19, v70, v19, vcc
	;; [unrolled: 1-line block ×6, first 2 shown]
	v_cmp_ne_u32_e32 vcc, 0, v91
	v_cndmask_b32_e32 v24, 3, v18, vcc
	v_lshrrev_b32_e32 v25, 8, v18
	v_cmp_ne_u32_e32 vcc, 1, v91
	v_cndmask_b32_e32 v25, 3, v25, vcc
	v_lshlrev_b16_e32 v25, 8, v25
	v_or_b32_sdwa v24, v24, v25 dst_sel:DWORD dst_unused:UNUSED_PAD src0_sel:BYTE_0 src1_sel:DWORD
	v_lshrrev_b32_e32 v25, 24, v18
	v_cmp_ne_u32_e32 vcc, 3, v91
	v_cndmask_b32_e32 v25, 3, v25, vcc
	v_lshrrev_b32_e32 v26, 16, v18
	v_cmp_ne_u32_e32 vcc, 2, v91
	v_lshlrev_b16_e32 v25, 8, v25
	v_cndmask_b32_e32 v26, 3, v26, vcc
	v_or_b32_sdwa v25, v26, v25 dst_sel:WORD_1 dst_unused:UNUSED_PAD src0_sel:BYTE_0 src1_sel:DWORD
	v_cmp_ne_u32_e32 vcc, 20, v91
	v_or_b32_sdwa v24, v24, v25 dst_sel:DWORD dst_unused:UNUSED_PAD src0_sel:WORD_0 src1_sel:DWORD
	v_cndmask_b32_e32 v25, 3, v23, vcc
	v_lshrrev_b32_e32 v26, 8, v23
	v_cmp_ne_u32_e32 vcc, 21, v91
	v_cndmask_b32_e32 v26, 3, v26, vcc
	v_lshlrev_b16_e32 v26, 8, v26
	v_or_b32_sdwa v25, v25, v26 dst_sel:DWORD dst_unused:UNUSED_PAD src0_sel:BYTE_0 src1_sel:DWORD
	v_lshrrev_b32_e32 v26, 24, v23
	v_cmp_ne_u32_e32 vcc, 23, v91
	v_cndmask_b32_e32 v26, 3, v26, vcc
	v_lshrrev_b32_e32 v67, 16, v23
	v_cmp_ne_u32_e32 vcc, 22, v91
	v_lshlrev_b16_e32 v26, 8, v26
	v_cndmask_b32_e32 v67, 3, v67, vcc
	v_or_b32_sdwa v26, v67, v26 dst_sel:WORD_1 dst_unused:UNUSED_PAD src0_sel:BYTE_0 src1_sel:DWORD
	v_cmp_ne_u32_e32 vcc, 16, v91
	v_or_b32_sdwa v25, v25, v26 dst_sel:DWORD dst_unused:UNUSED_PAD src0_sel:WORD_0 src1_sel:DWORD
	;; [unrolled: 16-line block ×5, first 2 shown]
	v_cndmask_b32_e32 v70, 3, v19, vcc
	v_lshrrev_b32_e32 v71, 8, v19
	v_cmp_ne_u32_e32 vcc, 5, v91
	v_cndmask_b32_e32 v71, 3, v71, vcc
	v_lshlrev_b16_e32 v71, 8, v71
	v_or_b32_sdwa v70, v70, v71 dst_sel:DWORD dst_unused:UNUSED_PAD src0_sel:BYTE_0 src1_sel:DWORD
	v_lshrrev_b32_e32 v71, 24, v19
	v_cmp_ne_u32_e32 vcc, 7, v91
	v_cndmask_b32_e32 v71, 3, v71, vcc
	v_lshrrev_b32_e32 v72, 16, v19
	v_cmp_ne_u32_e32 vcc, 6, v91
	v_lshlrev_b16_e32 v71, 8, v71
	v_cndmask_b32_e32 v72, 3, v72, vcc
	v_and_b32_e32 v96, 8, v28
	v_or_b32_sdwa v71, v72, v71 dst_sel:WORD_1 dst_unused:UNUSED_PAD src0_sel:BYTE_0 src1_sel:DWORD
	v_or_b32_sdwa v70, v70, v71 dst_sel:DWORD dst_unused:UNUSED_PAD src0_sel:WORD_0 src1_sel:DWORD
	v_cmp_eq_u32_e32 vcc, 0, v96
	v_cndmask_b32_e32 v18, v24, v18, vcc
	v_cndmask_b32_e32 v19, v70, v19, vcc
	;; [unrolled: 1-line block ×6, first 2 shown]
	v_cmp_ne_u32_e32 vcc, 0, v90
	v_cndmask_b32_e32 v24, 4, v18, vcc
	v_lshrrev_b32_e32 v25, 8, v18
	v_cmp_ne_u32_e32 vcc, 1, v90
	v_cndmask_b32_e32 v25, 4, v25, vcc
	v_lshlrev_b16_e32 v25, 8, v25
	v_or_b32_sdwa v24, v24, v25 dst_sel:DWORD dst_unused:UNUSED_PAD src0_sel:BYTE_0 src1_sel:DWORD
	v_lshrrev_b32_e32 v25, 24, v18
	v_cmp_ne_u32_e32 vcc, 3, v90
	v_cndmask_b32_e32 v25, 4, v25, vcc
	v_lshrrev_b32_e32 v26, 16, v18
	v_cmp_ne_u32_e32 vcc, 2, v90
	v_lshlrev_b16_e32 v25, 8, v25
	v_cndmask_b32_e32 v26, 4, v26, vcc
	v_or_b32_sdwa v25, v26, v25 dst_sel:WORD_1 dst_unused:UNUSED_PAD src0_sel:BYTE_0 src1_sel:DWORD
	v_cmp_ne_u32_e32 vcc, 20, v90
	v_or_b32_sdwa v24, v24, v25 dst_sel:DWORD dst_unused:UNUSED_PAD src0_sel:WORD_0 src1_sel:DWORD
	v_cndmask_b32_e32 v25, 4, v23, vcc
	v_lshrrev_b32_e32 v26, 8, v23
	v_cmp_ne_u32_e32 vcc, 21, v90
	v_cndmask_b32_e32 v26, 4, v26, vcc
	v_lshlrev_b16_e32 v26, 8, v26
	v_or_b32_sdwa v25, v25, v26 dst_sel:DWORD dst_unused:UNUSED_PAD src0_sel:BYTE_0 src1_sel:DWORD
	v_lshrrev_b32_e32 v26, 24, v23
	v_cmp_ne_u32_e32 vcc, 23, v90
	v_cndmask_b32_e32 v26, 4, v26, vcc
	v_lshrrev_b32_e32 v67, 16, v23
	v_cmp_ne_u32_e32 vcc, 22, v90
	v_lshlrev_b16_e32 v26, 8, v26
	v_cndmask_b32_e32 v67, 4, v67, vcc
	v_or_b32_sdwa v26, v67, v26 dst_sel:WORD_1 dst_unused:UNUSED_PAD src0_sel:BYTE_0 src1_sel:DWORD
	v_cmp_ne_u32_e32 vcc, 16, v90
	v_or_b32_sdwa v25, v25, v26 dst_sel:DWORD dst_unused:UNUSED_PAD src0_sel:WORD_0 src1_sel:DWORD
	;; [unrolled: 16-line block ×5, first 2 shown]
	v_cndmask_b32_e32 v70, 4, v19, vcc
	v_lshrrev_b32_e32 v71, 8, v19
	v_cmp_ne_u32_e32 vcc, 5, v90
	v_cndmask_b32_e32 v71, 4, v71, vcc
	v_lshlrev_b16_e32 v71, 8, v71
	v_or_b32_sdwa v70, v70, v71 dst_sel:DWORD dst_unused:UNUSED_PAD src0_sel:BYTE_0 src1_sel:DWORD
	v_lshrrev_b32_e32 v71, 24, v19
	v_cmp_ne_u32_e32 vcc, 7, v90
	v_cndmask_b32_e32 v71, 4, v71, vcc
	v_lshrrev_b32_e32 v72, 16, v19
	v_cmp_ne_u32_e32 vcc, 6, v90
	v_lshlrev_b16_e32 v71, 8, v71
	v_cndmask_b32_e32 v72, 4, v72, vcc
	v_and_b32_e32 v97, 16, v28
	v_or_b32_sdwa v71, v72, v71 dst_sel:WORD_1 dst_unused:UNUSED_PAD src0_sel:BYTE_0 src1_sel:DWORD
	v_or_b32_sdwa v70, v70, v71 dst_sel:DWORD dst_unused:UNUSED_PAD src0_sel:WORD_0 src1_sel:DWORD
	v_cmp_eq_u32_e32 vcc, 0, v97
	v_cndmask_b32_e32 v18, v24, v18, vcc
	v_cndmask_b32_e32 v19, v70, v19, vcc
	;; [unrolled: 1-line block ×6, first 2 shown]
	v_cmp_ne_u32_e32 vcc, 0, v88
	v_cndmask_b32_e32 v24, 5, v18, vcc
	v_lshrrev_b32_e32 v25, 8, v18
	v_cmp_ne_u32_e32 vcc, 1, v88
	v_cndmask_b32_e32 v25, 5, v25, vcc
	v_lshlrev_b16_e32 v25, 8, v25
	v_or_b32_sdwa v24, v24, v25 dst_sel:DWORD dst_unused:UNUSED_PAD src0_sel:BYTE_0 src1_sel:DWORD
	v_lshrrev_b32_e32 v25, 24, v18
	v_cmp_ne_u32_e32 vcc, 3, v88
	v_cndmask_b32_e32 v25, 5, v25, vcc
	v_lshrrev_b32_e32 v26, 16, v18
	v_cmp_ne_u32_e32 vcc, 2, v88
	v_lshlrev_b16_e32 v25, 8, v25
	v_cndmask_b32_e32 v26, 5, v26, vcc
	v_or_b32_sdwa v25, v26, v25 dst_sel:WORD_1 dst_unused:UNUSED_PAD src0_sel:BYTE_0 src1_sel:DWORD
	v_cmp_ne_u32_e32 vcc, 20, v88
	v_or_b32_sdwa v24, v24, v25 dst_sel:DWORD dst_unused:UNUSED_PAD src0_sel:WORD_0 src1_sel:DWORD
	v_cndmask_b32_e32 v25, 5, v23, vcc
	v_lshrrev_b32_e32 v26, 8, v23
	v_cmp_ne_u32_e32 vcc, 21, v88
	v_cndmask_b32_e32 v26, 5, v26, vcc
	v_lshlrev_b16_e32 v26, 8, v26
	v_or_b32_sdwa v25, v25, v26 dst_sel:DWORD dst_unused:UNUSED_PAD src0_sel:BYTE_0 src1_sel:DWORD
	v_lshrrev_b32_e32 v26, 24, v23
	v_cmp_ne_u32_e32 vcc, 23, v88
	v_cndmask_b32_e32 v26, 5, v26, vcc
	v_lshrrev_b32_e32 v67, 16, v23
	v_cmp_ne_u32_e32 vcc, 22, v88
	v_lshlrev_b16_e32 v26, 8, v26
	v_cndmask_b32_e32 v67, 5, v67, vcc
	v_or_b32_sdwa v26, v67, v26 dst_sel:WORD_1 dst_unused:UNUSED_PAD src0_sel:BYTE_0 src1_sel:DWORD
	v_cmp_ne_u32_e32 vcc, 16, v88
	v_or_b32_sdwa v25, v25, v26 dst_sel:DWORD dst_unused:UNUSED_PAD src0_sel:WORD_0 src1_sel:DWORD
	;; [unrolled: 16-line block ×5, first 2 shown]
	v_cndmask_b32_e32 v70, 5, v19, vcc
	v_lshrrev_b32_e32 v71, 8, v19
	v_cmp_ne_u32_e32 vcc, 5, v88
	v_cndmask_b32_e32 v71, 5, v71, vcc
	v_lshlrev_b16_e32 v71, 8, v71
	v_or_b32_sdwa v70, v70, v71 dst_sel:DWORD dst_unused:UNUSED_PAD src0_sel:BYTE_0 src1_sel:DWORD
	v_lshrrev_b32_e32 v71, 24, v19
	v_cmp_ne_u32_e32 vcc, 7, v88
	v_cndmask_b32_e32 v71, 5, v71, vcc
	v_lshrrev_b32_e32 v72, 16, v19
	v_cmp_ne_u32_e32 vcc, 6, v88
	v_lshlrev_b16_e32 v71, 8, v71
	v_cndmask_b32_e32 v72, 5, v72, vcc
	v_and_b32_e32 v89, 32, v28
	v_or_b32_sdwa v71, v72, v71 dst_sel:WORD_1 dst_unused:UNUSED_PAD src0_sel:BYTE_0 src1_sel:DWORD
	v_or_b32_sdwa v70, v70, v71 dst_sel:DWORD dst_unused:UNUSED_PAD src0_sel:WORD_0 src1_sel:DWORD
	v_cmp_eq_u32_e32 vcc, 0, v89
	v_cndmask_b32_e32 v18, v24, v18, vcc
	v_cndmask_b32_e32 v19, v70, v19, vcc
	;; [unrolled: 1-line block ×6, first 2 shown]
	v_cmp_ne_u32_e32 vcc, 0, v86
	v_cndmask_b32_e32 v24, 6, v18, vcc
	v_lshrrev_b32_e32 v25, 8, v18
	v_cmp_ne_u32_e32 vcc, 1, v86
	v_cndmask_b32_e32 v25, 6, v25, vcc
	v_lshlrev_b16_e32 v25, 8, v25
	v_or_b32_sdwa v24, v24, v25 dst_sel:DWORD dst_unused:UNUSED_PAD src0_sel:BYTE_0 src1_sel:DWORD
	v_lshrrev_b32_e32 v25, 24, v18
	v_cmp_ne_u32_e32 vcc, 3, v86
	v_cndmask_b32_e32 v25, 6, v25, vcc
	v_lshrrev_b32_e32 v26, 16, v18
	v_cmp_ne_u32_e32 vcc, 2, v86
	v_lshlrev_b16_e32 v25, 8, v25
	v_cndmask_b32_e32 v26, 6, v26, vcc
	v_or_b32_sdwa v25, v26, v25 dst_sel:WORD_1 dst_unused:UNUSED_PAD src0_sel:BYTE_0 src1_sel:DWORD
	v_cmp_ne_u32_e32 vcc, 20, v86
	v_or_b32_sdwa v24, v24, v25 dst_sel:DWORD dst_unused:UNUSED_PAD src0_sel:WORD_0 src1_sel:DWORD
	v_cndmask_b32_e32 v25, 6, v23, vcc
	v_lshrrev_b32_e32 v26, 8, v23
	v_cmp_ne_u32_e32 vcc, 21, v86
	v_cndmask_b32_e32 v26, 6, v26, vcc
	v_lshlrev_b16_e32 v26, 8, v26
	v_or_b32_sdwa v25, v25, v26 dst_sel:DWORD dst_unused:UNUSED_PAD src0_sel:BYTE_0 src1_sel:DWORD
	v_lshrrev_b32_e32 v26, 24, v23
	v_cmp_ne_u32_e32 vcc, 23, v86
	v_cndmask_b32_e32 v26, 6, v26, vcc
	v_lshrrev_b32_e32 v67, 16, v23
	v_cmp_ne_u32_e32 vcc, 22, v86
	v_lshlrev_b16_e32 v26, 8, v26
	v_cndmask_b32_e32 v67, 6, v67, vcc
	v_or_b32_sdwa v26, v67, v26 dst_sel:WORD_1 dst_unused:UNUSED_PAD src0_sel:BYTE_0 src1_sel:DWORD
	v_cmp_ne_u32_e32 vcc, 16, v86
	v_or_b32_sdwa v25, v25, v26 dst_sel:DWORD dst_unused:UNUSED_PAD src0_sel:WORD_0 src1_sel:DWORD
	;; [unrolled: 16-line block ×5, first 2 shown]
	v_cndmask_b32_e32 v70, 6, v19, vcc
	v_lshrrev_b32_e32 v71, 8, v19
	v_cmp_ne_u32_e32 vcc, 5, v86
	v_cndmask_b32_e32 v71, 6, v71, vcc
	v_lshlrev_b16_e32 v71, 8, v71
	v_or_b32_sdwa v70, v70, v71 dst_sel:DWORD dst_unused:UNUSED_PAD src0_sel:BYTE_0 src1_sel:DWORD
	v_lshrrev_b32_e32 v71, 24, v19
	v_cmp_ne_u32_e32 vcc, 7, v86
	v_cndmask_b32_e32 v71, 6, v71, vcc
	v_lshrrev_b32_e32 v72, 16, v19
	v_cmp_ne_u32_e32 vcc, 6, v86
	v_lshlrev_b16_e32 v71, 8, v71
	v_cndmask_b32_e32 v72, 6, v72, vcc
	v_and_b32_e32 v87, 64, v28
	v_or_b32_sdwa v71, v72, v71 dst_sel:WORD_1 dst_unused:UNUSED_PAD src0_sel:BYTE_0 src1_sel:DWORD
	v_or_b32_sdwa v70, v70, v71 dst_sel:DWORD dst_unused:UNUSED_PAD src0_sel:WORD_0 src1_sel:DWORD
	v_cmp_eq_u32_e32 vcc, 0, v87
	v_cndmask_b32_e32 v18, v24, v18, vcc
	v_cndmask_b32_e32 v19, v70, v19, vcc
	;; [unrolled: 1-line block ×6, first 2 shown]
	v_cmp_ne_u32_e32 vcc, 0, v84
	v_cndmask_b32_e32 v24, 7, v18, vcc
	v_lshrrev_b32_e32 v25, 8, v18
	v_cmp_ne_u32_e32 vcc, 1, v84
	v_cndmask_b32_e32 v25, 7, v25, vcc
	v_lshlrev_b16_e32 v25, 8, v25
	v_or_b32_sdwa v24, v24, v25 dst_sel:DWORD dst_unused:UNUSED_PAD src0_sel:BYTE_0 src1_sel:DWORD
	v_lshrrev_b32_e32 v25, 24, v18
	v_cmp_ne_u32_e32 vcc, 3, v84
	v_cndmask_b32_e32 v25, 7, v25, vcc
	v_lshrrev_b32_e32 v26, 16, v18
	v_cmp_ne_u32_e32 vcc, 2, v84
	v_lshlrev_b16_e32 v25, 8, v25
	v_cndmask_b32_e32 v26, 7, v26, vcc
	v_or_b32_sdwa v25, v26, v25 dst_sel:WORD_1 dst_unused:UNUSED_PAD src0_sel:BYTE_0 src1_sel:DWORD
	v_cmp_ne_u32_e32 vcc, 20, v84
	v_or_b32_sdwa v24, v24, v25 dst_sel:DWORD dst_unused:UNUSED_PAD src0_sel:WORD_0 src1_sel:DWORD
	v_cndmask_b32_e32 v25, 7, v23, vcc
	v_lshrrev_b32_e32 v26, 8, v23
	v_cmp_ne_u32_e32 vcc, 21, v84
	v_cndmask_b32_e32 v26, 7, v26, vcc
	v_lshlrev_b16_e32 v26, 8, v26
	v_or_b32_sdwa v25, v25, v26 dst_sel:DWORD dst_unused:UNUSED_PAD src0_sel:BYTE_0 src1_sel:DWORD
	v_lshrrev_b32_e32 v26, 24, v23
	v_cmp_ne_u32_e32 vcc, 23, v84
	v_cndmask_b32_e32 v26, 7, v26, vcc
	v_lshrrev_b32_e32 v67, 16, v23
	v_cmp_ne_u32_e32 vcc, 22, v84
	v_lshlrev_b16_e32 v26, 8, v26
	v_cndmask_b32_e32 v67, 7, v67, vcc
	v_or_b32_sdwa v26, v67, v26 dst_sel:WORD_1 dst_unused:UNUSED_PAD src0_sel:BYTE_0 src1_sel:DWORD
	v_cmp_ne_u32_e32 vcc, 16, v84
	v_or_b32_sdwa v25, v25, v26 dst_sel:DWORD dst_unused:UNUSED_PAD src0_sel:WORD_0 src1_sel:DWORD
	;; [unrolled: 16-line block ×5, first 2 shown]
	v_cndmask_b32_e32 v70, 7, v19, vcc
	v_lshrrev_b32_e32 v71, 8, v19
	v_cmp_ne_u32_e32 vcc, 5, v84
	v_cndmask_b32_e32 v71, 7, v71, vcc
	v_lshlrev_b16_e32 v71, 8, v71
	v_or_b32_sdwa v70, v70, v71 dst_sel:DWORD dst_unused:UNUSED_PAD src0_sel:BYTE_0 src1_sel:DWORD
	v_lshrrev_b32_e32 v71, 24, v19
	v_cmp_ne_u32_e32 vcc, 7, v84
	v_cndmask_b32_e32 v71, 7, v71, vcc
	v_lshrrev_b32_e32 v72, 16, v19
	v_cmp_ne_u32_e32 vcc, 6, v84
	v_lshlrev_b16_e32 v71, 8, v71
	v_cndmask_b32_e32 v72, 7, v72, vcc
	v_and_b32_e32 v85, 0x80, v28
	v_or_b32_sdwa v71, v72, v71 dst_sel:WORD_1 dst_unused:UNUSED_PAD src0_sel:BYTE_0 src1_sel:DWORD
	v_or_b32_sdwa v70, v70, v71 dst_sel:DWORD dst_unused:UNUSED_PAD src0_sel:WORD_0 src1_sel:DWORD
	v_cmp_eq_u32_e32 vcc, 0, v85
	v_cndmask_b32_e32 v18, v24, v18, vcc
	v_cndmask_b32_e32 v19, v70, v19, vcc
	;; [unrolled: 1-line block ×6, first 2 shown]
	v_cmp_ne_u32_e32 vcc, 0, v68
	v_cndmask_b32_e32 v24, 8, v18, vcc
	v_lshrrev_b32_e32 v25, 8, v18
	v_cmp_ne_u32_e32 vcc, 1, v68
	v_cndmask_b32_e32 v25, 8, v25, vcc
	v_lshlrev_b16_e32 v25, 8, v25
	v_or_b32_sdwa v24, v24, v25 dst_sel:DWORD dst_unused:UNUSED_PAD src0_sel:BYTE_0 src1_sel:DWORD
	v_lshrrev_b32_e32 v25, 24, v18
	v_cmp_ne_u32_e32 vcc, 3, v68
	v_cndmask_b32_e32 v25, 8, v25, vcc
	v_lshrrev_b32_e32 v26, 16, v18
	v_cmp_ne_u32_e32 vcc, 2, v68
	v_lshlrev_b16_e32 v25, 8, v25
	v_cndmask_b32_e32 v26, 8, v26, vcc
	v_or_b32_sdwa v25, v26, v25 dst_sel:WORD_1 dst_unused:UNUSED_PAD src0_sel:BYTE_0 src1_sel:DWORD
	v_cmp_ne_u32_e32 vcc, 20, v68
	v_or_b32_sdwa v24, v24, v25 dst_sel:DWORD dst_unused:UNUSED_PAD src0_sel:WORD_0 src1_sel:DWORD
	v_cndmask_b32_e32 v25, 8, v23, vcc
	v_lshrrev_b32_e32 v26, 8, v23
	v_cmp_ne_u32_e32 vcc, 21, v68
	v_cndmask_b32_e32 v26, 8, v26, vcc
	v_lshlrev_b16_e32 v26, 8, v26
	v_or_b32_sdwa v25, v25, v26 dst_sel:DWORD dst_unused:UNUSED_PAD src0_sel:BYTE_0 src1_sel:DWORD
	v_lshrrev_b32_e32 v26, 24, v23
	v_cmp_ne_u32_e32 vcc, 23, v68
	v_cndmask_b32_e32 v26, 8, v26, vcc
	v_lshrrev_b32_e32 v67, 16, v23
	v_cmp_ne_u32_e32 vcc, 22, v68
	v_lshlrev_b16_e32 v26, 8, v26
	v_cndmask_b32_e32 v67, 8, v67, vcc
	v_or_b32_sdwa v26, v67, v26 dst_sel:WORD_1 dst_unused:UNUSED_PAD src0_sel:BYTE_0 src1_sel:DWORD
	v_cmp_ne_u32_e32 vcc, 16, v68
	v_or_b32_sdwa v25, v25, v26 dst_sel:DWORD dst_unused:UNUSED_PAD src0_sel:WORD_0 src1_sel:DWORD
	;; [unrolled: 16-line block ×5, first 2 shown]
	v_cndmask_b32_e32 v70, 8, v19, vcc
	v_lshrrev_b32_e32 v71, 8, v19
	v_cmp_ne_u32_e32 vcc, 5, v68
	v_cndmask_b32_e32 v71, 8, v71, vcc
	v_lshlrev_b16_e32 v71, 8, v71
	v_or_b32_sdwa v70, v70, v71 dst_sel:DWORD dst_unused:UNUSED_PAD src0_sel:BYTE_0 src1_sel:DWORD
	v_lshrrev_b32_e32 v71, 24, v19
	v_cmp_ne_u32_e32 vcc, 7, v68
	v_cndmask_b32_e32 v71, 8, v71, vcc
	v_lshrrev_b32_e32 v72, 16, v19
	v_cmp_ne_u32_e32 vcc, 6, v68
	v_lshlrev_b16_e32 v71, 8, v71
	v_cndmask_b32_e32 v68, 8, v72, vcc
	v_and_b32_e32 v77, 0x100, v28
	v_or_b32_sdwa v68, v68, v71 dst_sel:WORD_1 dst_unused:UNUSED_PAD src0_sel:BYTE_0 src1_sel:DWORD
	v_or_b32_sdwa v68, v70, v68 dst_sel:DWORD dst_unused:UNUSED_PAD src0_sel:WORD_0 src1_sel:DWORD
	v_cmp_eq_u32_e32 vcc, 0, v77
	v_cndmask_b32_e32 v18, v24, v18, vcc
	v_cndmask_b32_e32 v19, v68, v19, vcc
	v_cndmask_b32_e32 v20, v69, v20, vcc
	v_cndmask_b32_e32 v21, v67, v21, vcc
	v_cndmask_b32_e32 v22, v26, v22, vcc
	v_cndmask_b32_e32 v23, v25, v23, vcc
	v_cmp_ne_u32_e32 vcc, 0, v65
	v_cndmask_b32_e32 v24, 9, v18, vcc
	v_lshrrev_b32_e32 v25, 8, v18
	v_cmp_ne_u32_e32 vcc, 1, v65
	v_cndmask_b32_e32 v25, 9, v25, vcc
	v_lshlrev_b16_e32 v25, 8, v25
	v_or_b32_sdwa v24, v24, v25 dst_sel:DWORD dst_unused:UNUSED_PAD src0_sel:BYTE_0 src1_sel:DWORD
	v_lshrrev_b32_e32 v25, 24, v18
	v_cmp_ne_u32_e32 vcc, 3, v65
	v_cndmask_b32_e32 v25, 9, v25, vcc
	v_lshrrev_b32_e32 v26, 16, v18
	v_cmp_ne_u32_e32 vcc, 2, v65
	v_lshlrev_b16_e32 v25, 8, v25
	v_cndmask_b32_e32 v26, 9, v26, vcc
	v_or_b32_sdwa v25, v26, v25 dst_sel:WORD_1 dst_unused:UNUSED_PAD src0_sel:BYTE_0 src1_sel:DWORD
	v_cmp_ne_u32_e32 vcc, 20, v65
	v_or_b32_sdwa v24, v24, v25 dst_sel:DWORD dst_unused:UNUSED_PAD src0_sel:WORD_0 src1_sel:DWORD
	v_cndmask_b32_e32 v25, 9, v23, vcc
	v_lshrrev_b32_e32 v26, 8, v23
	v_cmp_ne_u32_e32 vcc, 21, v65
	v_cndmask_b32_e32 v26, 9, v26, vcc
	v_lshlrev_b16_e32 v26, 8, v26
	v_or_b32_sdwa v25, v25, v26 dst_sel:DWORD dst_unused:UNUSED_PAD src0_sel:BYTE_0 src1_sel:DWORD
	v_lshrrev_b32_e32 v26, 24, v23
	v_cmp_ne_u32_e32 vcc, 23, v65
	v_cndmask_b32_e32 v26, 9, v26, vcc
	v_lshrrev_b32_e32 v67, 16, v23
	v_cmp_ne_u32_e32 vcc, 22, v65
	v_lshlrev_b16_e32 v26, 8, v26
	v_cndmask_b32_e32 v67, 9, v67, vcc
	v_or_b32_sdwa v26, v67, v26 dst_sel:WORD_1 dst_unused:UNUSED_PAD src0_sel:BYTE_0 src1_sel:DWORD
	v_cmp_ne_u32_e32 vcc, 16, v65
	v_or_b32_sdwa v25, v25, v26 dst_sel:DWORD dst_unused:UNUSED_PAD src0_sel:WORD_0 src1_sel:DWORD
	v_cndmask_b32_e32 v26, 9, v22, vcc
	v_lshrrev_b32_e32 v67, 8, v22
	v_cmp_ne_u32_e32 vcc, 17, v65
	v_cndmask_b32_e32 v67, 9, v67, vcc
	v_lshlrev_b16_e32 v67, 8, v67
	v_or_b32_sdwa v26, v26, v67 dst_sel:DWORD dst_unused:UNUSED_PAD src0_sel:BYTE_0 src1_sel:DWORD
	v_lshrrev_b32_e32 v67, 24, v22
	v_cmp_ne_u32_e32 vcc, 19, v65
	v_cndmask_b32_e32 v67, 9, v67, vcc
	v_lshrrev_b32_e32 v68, 16, v22
	v_cmp_ne_u32_e32 vcc, 18, v65
	v_lshlrev_b16_e32 v67, 8, v67
	v_cndmask_b32_e32 v68, 9, v68, vcc
	v_or_b32_sdwa v67, v68, v67 dst_sel:WORD_1 dst_unused:UNUSED_PAD src0_sel:BYTE_0 src1_sel:DWORD
	v_cmp_ne_u32_e32 vcc, 12, v65
	v_or_b32_sdwa v26, v26, v67 dst_sel:DWORD dst_unused:UNUSED_PAD src0_sel:WORD_0 src1_sel:DWORD
	v_cndmask_b32_e32 v67, 9, v21, vcc
	v_lshrrev_b32_e32 v68, 8, v21
	v_cmp_ne_u32_e32 vcc, 13, v65
	v_cndmask_b32_e32 v68, 9, v68, vcc
	v_lshlrev_b16_e32 v68, 8, v68
	v_or_b32_sdwa v67, v67, v68 dst_sel:DWORD dst_unused:UNUSED_PAD src0_sel:BYTE_0 src1_sel:DWORD
	v_lshrrev_b32_e32 v68, 24, v21
	v_cmp_ne_u32_e32 vcc, 15, v65
	v_cndmask_b32_e32 v68, 9, v68, vcc
	v_lshrrev_b32_e32 v69, 16, v21
	v_cmp_ne_u32_e32 vcc, 14, v65
	v_lshlrev_b16_e32 v68, 8, v68
	v_cndmask_b32_e32 v69, 9, v69, vcc
	v_or_b32_sdwa v68, v69, v68 dst_sel:WORD_1 dst_unused:UNUSED_PAD src0_sel:BYTE_0 src1_sel:DWORD
	v_cmp_ne_u32_e32 vcc, 8, v65
	v_or_b32_sdwa v67, v67, v68 dst_sel:DWORD dst_unused:UNUSED_PAD src0_sel:WORD_0 src1_sel:DWORD
	v_cndmask_b32_e32 v68, 9, v20, vcc
	v_lshrrev_b32_e32 v69, 8, v20
	v_cmp_ne_u32_e32 vcc, 9, v65
	v_cndmask_b32_e32 v69, 9, v69, vcc
	v_lshlrev_b16_e32 v69, 8, v69
	v_or_b32_sdwa v68, v68, v69 dst_sel:DWORD dst_unused:UNUSED_PAD src0_sel:BYTE_0 src1_sel:DWORD
	v_lshrrev_b32_e32 v69, 24, v20
	v_cmp_ne_u32_e32 vcc, 11, v65
	v_cndmask_b32_e32 v69, 9, v69, vcc
	v_lshrrev_b32_e32 v70, 16, v20
	v_cmp_ne_u32_e32 vcc, 10, v65
	v_lshlrev_b16_e32 v69, 8, v69
	v_cndmask_b32_e32 v70, 9, v70, vcc
	v_or_b32_sdwa v69, v70, v69 dst_sel:WORD_1 dst_unused:UNUSED_PAD src0_sel:BYTE_0 src1_sel:DWORD
	v_cmp_ne_u32_e32 vcc, 4, v65
	v_or_b32_sdwa v68, v68, v69 dst_sel:DWORD dst_unused:UNUSED_PAD src0_sel:WORD_0 src1_sel:DWORD
	v_cndmask_b32_e32 v69, 9, v19, vcc
	v_lshrrev_b32_e32 v70, 8, v19
	v_cmp_ne_u32_e32 vcc, 5, v65
	v_cndmask_b32_e32 v70, 9, v70, vcc
	v_lshlrev_b16_e32 v70, 8, v70
	v_or_b32_sdwa v69, v69, v70 dst_sel:DWORD dst_unused:UNUSED_PAD src0_sel:BYTE_0 src1_sel:DWORD
	v_lshrrev_b32_e32 v70, 24, v19
	v_cmp_ne_u32_e32 vcc, 7, v65
	v_cndmask_b32_e32 v70, 9, v70, vcc
	v_lshrrev_b32_e32 v71, 16, v19
	v_cmp_ne_u32_e32 vcc, 6, v65
	v_lshlrev_b16_e32 v70, 8, v70
	v_cndmask_b32_e32 v65, 9, v71, vcc
	v_and_b32_e32 v66, 0x200, v28
	v_or_b32_sdwa v65, v65, v70 dst_sel:WORD_1 dst_unused:UNUSED_PAD src0_sel:BYTE_0 src1_sel:DWORD
	v_or_b32_sdwa v65, v69, v65 dst_sel:DWORD dst_unused:UNUSED_PAD src0_sel:WORD_0 src1_sel:DWORD
	v_cmp_eq_u32_e32 vcc, 0, v66
	v_cndmask_b32_e32 v18, v24, v18, vcc
	v_cndmask_b32_e32 v19, v65, v19, vcc
	;; [unrolled: 1-line block ×6, first 2 shown]
	v_cmp_ne_u32_e32 vcc, 0, v63
	v_cndmask_b32_e32 v24, 10, v18, vcc
	v_lshrrev_b32_e32 v25, 8, v18
	v_cmp_ne_u32_e32 vcc, 1, v63
	v_cndmask_b32_e32 v25, 10, v25, vcc
	v_lshlrev_b16_e32 v25, 8, v25
	v_or_b32_sdwa v24, v24, v25 dst_sel:DWORD dst_unused:UNUSED_PAD src0_sel:BYTE_0 src1_sel:DWORD
	v_lshrrev_b32_e32 v25, 24, v18
	v_cmp_ne_u32_e32 vcc, 3, v63
	v_cndmask_b32_e32 v25, 10, v25, vcc
	v_lshrrev_b32_e32 v26, 16, v18
	v_cmp_ne_u32_e32 vcc, 2, v63
	v_lshlrev_b16_e32 v25, 8, v25
	v_cndmask_b32_e32 v26, 10, v26, vcc
	v_or_b32_sdwa v25, v26, v25 dst_sel:WORD_1 dst_unused:UNUSED_PAD src0_sel:BYTE_0 src1_sel:DWORD
	v_cmp_ne_u32_e32 vcc, 20, v63
	v_or_b32_sdwa v24, v24, v25 dst_sel:DWORD dst_unused:UNUSED_PAD src0_sel:WORD_0 src1_sel:DWORD
	v_cndmask_b32_e32 v25, 10, v23, vcc
	v_lshrrev_b32_e32 v26, 8, v23
	v_cmp_ne_u32_e32 vcc, 21, v63
	v_cndmask_b32_e32 v26, 10, v26, vcc
	v_lshlrev_b16_e32 v26, 8, v26
	v_or_b32_sdwa v25, v25, v26 dst_sel:DWORD dst_unused:UNUSED_PAD src0_sel:BYTE_0 src1_sel:DWORD
	v_lshrrev_b32_e32 v26, 24, v23
	v_cmp_ne_u32_e32 vcc, 23, v63
	v_cndmask_b32_e32 v26, 10, v26, vcc
	v_lshrrev_b32_e32 v65, 16, v23
	v_cmp_ne_u32_e32 vcc, 22, v63
	v_lshlrev_b16_e32 v26, 8, v26
	v_cndmask_b32_e32 v65, 10, v65, vcc
	v_or_b32_sdwa v26, v65, v26 dst_sel:WORD_1 dst_unused:UNUSED_PAD src0_sel:BYTE_0 src1_sel:DWORD
	v_cmp_ne_u32_e32 vcc, 16, v63
	v_or_b32_sdwa v25, v25, v26 dst_sel:DWORD dst_unused:UNUSED_PAD src0_sel:WORD_0 src1_sel:DWORD
	;; [unrolled: 16-line block ×5, first 2 shown]
	v_cndmask_b32_e32 v67, 10, v19, vcc
	v_lshrrev_b32_e32 v68, 8, v19
	v_cmp_ne_u32_e32 vcc, 5, v63
	v_cndmask_b32_e32 v68, 10, v68, vcc
	v_lshlrev_b16_e32 v68, 8, v68
	v_or_b32_sdwa v67, v67, v68 dst_sel:DWORD dst_unused:UNUSED_PAD src0_sel:BYTE_0 src1_sel:DWORD
	v_lshrrev_b32_e32 v68, 24, v19
	v_cmp_ne_u32_e32 vcc, 7, v63
	v_cndmask_b32_e32 v68, 10, v68, vcc
	v_lshrrev_b32_e32 v69, 16, v19
	v_cmp_ne_u32_e32 vcc, 6, v63
	v_lshlrev_b16_e32 v68, 8, v68
	v_cndmask_b32_e32 v63, 10, v69, vcc
	v_and_b32_e32 v64, 0x400, v28
	v_or_b32_sdwa v63, v63, v68 dst_sel:WORD_1 dst_unused:UNUSED_PAD src0_sel:BYTE_0 src1_sel:DWORD
	v_or_b32_sdwa v63, v67, v63 dst_sel:DWORD dst_unused:UNUSED_PAD src0_sel:WORD_0 src1_sel:DWORD
	v_cmp_eq_u32_e32 vcc, 0, v64
	v_cndmask_b32_e32 v18, v24, v18, vcc
	v_cndmask_b32_e32 v19, v63, v19, vcc
	;; [unrolled: 1-line block ×6, first 2 shown]
	v_cmp_ne_u32_e32 vcc, 0, v61
	v_cndmask_b32_e32 v24, 11, v18, vcc
	v_lshrrev_b32_e32 v25, 8, v18
	v_cmp_ne_u32_e32 vcc, 1, v61
	v_cndmask_b32_e32 v25, 11, v25, vcc
	v_lshlrev_b16_e32 v25, 8, v25
	v_or_b32_sdwa v24, v24, v25 dst_sel:DWORD dst_unused:UNUSED_PAD src0_sel:BYTE_0 src1_sel:DWORD
	v_lshrrev_b32_e32 v25, 24, v18
	v_cmp_ne_u32_e32 vcc, 3, v61
	v_cndmask_b32_e32 v25, 11, v25, vcc
	v_lshrrev_b32_e32 v26, 16, v18
	v_cmp_ne_u32_e32 vcc, 2, v61
	v_lshlrev_b16_e32 v25, 8, v25
	v_cndmask_b32_e32 v26, 11, v26, vcc
	v_or_b32_sdwa v25, v26, v25 dst_sel:WORD_1 dst_unused:UNUSED_PAD src0_sel:BYTE_0 src1_sel:DWORD
	v_cmp_ne_u32_e32 vcc, 20, v61
	v_or_b32_sdwa v24, v24, v25 dst_sel:DWORD dst_unused:UNUSED_PAD src0_sel:WORD_0 src1_sel:DWORD
	v_cndmask_b32_e32 v25, 11, v23, vcc
	v_lshrrev_b32_e32 v26, 8, v23
	v_cmp_ne_u32_e32 vcc, 21, v61
	v_cndmask_b32_e32 v26, 11, v26, vcc
	v_lshlrev_b16_e32 v26, 8, v26
	v_or_b32_sdwa v25, v25, v26 dst_sel:DWORD dst_unused:UNUSED_PAD src0_sel:BYTE_0 src1_sel:DWORD
	v_lshrrev_b32_e32 v26, 24, v23
	v_cmp_ne_u32_e32 vcc, 23, v61
	v_cndmask_b32_e32 v26, 11, v26, vcc
	v_lshrrev_b32_e32 v63, 16, v23
	v_cmp_ne_u32_e32 vcc, 22, v61
	v_lshlrev_b16_e32 v26, 8, v26
	v_cndmask_b32_e32 v63, 11, v63, vcc
	v_or_b32_sdwa v26, v63, v26 dst_sel:WORD_1 dst_unused:UNUSED_PAD src0_sel:BYTE_0 src1_sel:DWORD
	v_cmp_ne_u32_e32 vcc, 16, v61
	v_or_b32_sdwa v25, v25, v26 dst_sel:DWORD dst_unused:UNUSED_PAD src0_sel:WORD_0 src1_sel:DWORD
	;; [unrolled: 16-line block ×5, first 2 shown]
	v_cndmask_b32_e32 v65, 11, v19, vcc
	v_lshrrev_b32_e32 v66, 8, v19
	v_cmp_ne_u32_e32 vcc, 5, v61
	v_cndmask_b32_e32 v66, 11, v66, vcc
	v_lshlrev_b16_e32 v66, 8, v66
	v_or_b32_sdwa v65, v65, v66 dst_sel:DWORD dst_unused:UNUSED_PAD src0_sel:BYTE_0 src1_sel:DWORD
	v_lshrrev_b32_e32 v66, 24, v19
	v_cmp_ne_u32_e32 vcc, 7, v61
	v_cndmask_b32_e32 v66, 11, v66, vcc
	v_lshrrev_b32_e32 v67, 16, v19
	v_cmp_ne_u32_e32 vcc, 6, v61
	v_lshlrev_b16_e32 v66, 8, v66
	v_cndmask_b32_e32 v61, 11, v67, vcc
	v_and_b32_e32 v62, 0x800, v28
	v_or_b32_sdwa v61, v61, v66 dst_sel:WORD_1 dst_unused:UNUSED_PAD src0_sel:BYTE_0 src1_sel:DWORD
	v_or_b32_sdwa v61, v65, v61 dst_sel:DWORD dst_unused:UNUSED_PAD src0_sel:WORD_0 src1_sel:DWORD
	v_cmp_eq_u32_e32 vcc, 0, v62
	v_cndmask_b32_e32 v18, v24, v18, vcc
	v_cndmask_b32_e32 v19, v61, v19, vcc
	;; [unrolled: 1-line block ×6, first 2 shown]
	v_cmp_ne_u32_e32 vcc, 0, v59
	v_cndmask_b32_e32 v24, 12, v18, vcc
	v_lshrrev_b32_e32 v25, 8, v18
	v_cmp_ne_u32_e32 vcc, 1, v59
	v_cndmask_b32_e32 v25, 12, v25, vcc
	v_lshlrev_b16_e32 v25, 8, v25
	v_or_b32_sdwa v24, v24, v25 dst_sel:DWORD dst_unused:UNUSED_PAD src0_sel:BYTE_0 src1_sel:DWORD
	v_lshrrev_b32_e32 v25, 24, v18
	v_cmp_ne_u32_e32 vcc, 3, v59
	v_cndmask_b32_e32 v25, 12, v25, vcc
	v_lshrrev_b32_e32 v26, 16, v18
	v_cmp_ne_u32_e32 vcc, 2, v59
	v_lshlrev_b16_e32 v25, 8, v25
	v_cndmask_b32_e32 v26, 12, v26, vcc
	v_or_b32_sdwa v25, v26, v25 dst_sel:WORD_1 dst_unused:UNUSED_PAD src0_sel:BYTE_0 src1_sel:DWORD
	v_cmp_ne_u32_e32 vcc, 20, v59
	v_or_b32_sdwa v24, v24, v25 dst_sel:DWORD dst_unused:UNUSED_PAD src0_sel:WORD_0 src1_sel:DWORD
	v_cndmask_b32_e32 v25, 12, v23, vcc
	v_lshrrev_b32_e32 v26, 8, v23
	v_cmp_ne_u32_e32 vcc, 21, v59
	v_cndmask_b32_e32 v26, 12, v26, vcc
	v_lshlrev_b16_e32 v26, 8, v26
	v_or_b32_sdwa v25, v25, v26 dst_sel:DWORD dst_unused:UNUSED_PAD src0_sel:BYTE_0 src1_sel:DWORD
	v_lshrrev_b32_e32 v26, 24, v23
	v_cmp_ne_u32_e32 vcc, 23, v59
	v_cndmask_b32_e32 v26, 12, v26, vcc
	v_lshrrev_b32_e32 v61, 16, v23
	v_cmp_ne_u32_e32 vcc, 22, v59
	v_lshlrev_b16_e32 v26, 8, v26
	v_cndmask_b32_e32 v61, 12, v61, vcc
	v_or_b32_sdwa v26, v61, v26 dst_sel:WORD_1 dst_unused:UNUSED_PAD src0_sel:BYTE_0 src1_sel:DWORD
	v_cmp_ne_u32_e32 vcc, 16, v59
	v_or_b32_sdwa v25, v25, v26 dst_sel:DWORD dst_unused:UNUSED_PAD src0_sel:WORD_0 src1_sel:DWORD
	;; [unrolled: 16-line block ×5, first 2 shown]
	v_cndmask_b32_e32 v63, 12, v19, vcc
	v_lshrrev_b32_e32 v64, 8, v19
	v_cmp_ne_u32_e32 vcc, 5, v59
	v_cndmask_b32_e32 v64, 12, v64, vcc
	v_lshlrev_b16_e32 v64, 8, v64
	v_or_b32_sdwa v63, v63, v64 dst_sel:DWORD dst_unused:UNUSED_PAD src0_sel:BYTE_0 src1_sel:DWORD
	v_lshrrev_b32_e32 v64, 24, v19
	v_cmp_ne_u32_e32 vcc, 7, v59
	v_cndmask_b32_e32 v64, 12, v64, vcc
	v_lshrrev_b32_e32 v65, 16, v19
	v_cmp_ne_u32_e32 vcc, 6, v59
	v_lshlrev_b16_e32 v64, 8, v64
	v_cndmask_b32_e32 v59, 12, v65, vcc
	v_and_b32_e32 v60, 0x1000, v28
	v_or_b32_sdwa v59, v59, v64 dst_sel:WORD_1 dst_unused:UNUSED_PAD src0_sel:BYTE_0 src1_sel:DWORD
	v_or_b32_sdwa v59, v63, v59 dst_sel:DWORD dst_unused:UNUSED_PAD src0_sel:WORD_0 src1_sel:DWORD
	v_cmp_eq_u32_e32 vcc, 0, v60
	v_cndmask_b32_e32 v18, v24, v18, vcc
	v_cndmask_b32_e32 v19, v59, v19, vcc
	;; [unrolled: 1-line block ×6, first 2 shown]
	v_cmp_ne_u32_e32 vcc, 0, v57
	v_cndmask_b32_e32 v24, 13, v18, vcc
	v_lshrrev_b32_e32 v25, 8, v18
	v_cmp_ne_u32_e32 vcc, 1, v57
	v_cndmask_b32_e32 v25, 13, v25, vcc
	v_lshlrev_b16_e32 v25, 8, v25
	v_or_b32_sdwa v24, v24, v25 dst_sel:DWORD dst_unused:UNUSED_PAD src0_sel:BYTE_0 src1_sel:DWORD
	v_lshrrev_b32_e32 v25, 24, v18
	v_cmp_ne_u32_e32 vcc, 3, v57
	v_cndmask_b32_e32 v25, 13, v25, vcc
	v_lshrrev_b32_e32 v26, 16, v18
	v_cmp_ne_u32_e32 vcc, 2, v57
	v_lshlrev_b16_e32 v25, 8, v25
	v_cndmask_b32_e32 v26, 13, v26, vcc
	v_or_b32_sdwa v25, v26, v25 dst_sel:WORD_1 dst_unused:UNUSED_PAD src0_sel:BYTE_0 src1_sel:DWORD
	v_cmp_ne_u32_e32 vcc, 20, v57
	v_or_b32_sdwa v24, v24, v25 dst_sel:DWORD dst_unused:UNUSED_PAD src0_sel:WORD_0 src1_sel:DWORD
	v_cndmask_b32_e32 v25, 13, v23, vcc
	v_lshrrev_b32_e32 v26, 8, v23
	v_cmp_ne_u32_e32 vcc, 21, v57
	v_cndmask_b32_e32 v26, 13, v26, vcc
	v_lshlrev_b16_e32 v26, 8, v26
	v_or_b32_sdwa v25, v25, v26 dst_sel:DWORD dst_unused:UNUSED_PAD src0_sel:BYTE_0 src1_sel:DWORD
	v_lshrrev_b32_e32 v26, 24, v23
	v_cmp_ne_u32_e32 vcc, 23, v57
	v_cndmask_b32_e32 v26, 13, v26, vcc
	v_lshrrev_b32_e32 v59, 16, v23
	v_cmp_ne_u32_e32 vcc, 22, v57
	v_lshlrev_b16_e32 v26, 8, v26
	v_cndmask_b32_e32 v59, 13, v59, vcc
	v_or_b32_sdwa v26, v59, v26 dst_sel:WORD_1 dst_unused:UNUSED_PAD src0_sel:BYTE_0 src1_sel:DWORD
	v_cmp_ne_u32_e32 vcc, 16, v57
	v_or_b32_sdwa v25, v25, v26 dst_sel:DWORD dst_unused:UNUSED_PAD src0_sel:WORD_0 src1_sel:DWORD
	;; [unrolled: 16-line block ×5, first 2 shown]
	v_cndmask_b32_e32 v61, 13, v19, vcc
	v_lshrrev_b32_e32 v62, 8, v19
	v_cmp_ne_u32_e32 vcc, 5, v57
	v_cndmask_b32_e32 v62, 13, v62, vcc
	v_lshlrev_b16_e32 v62, 8, v62
	v_or_b32_sdwa v61, v61, v62 dst_sel:DWORD dst_unused:UNUSED_PAD src0_sel:BYTE_0 src1_sel:DWORD
	v_lshrrev_b32_e32 v62, 24, v19
	v_cmp_ne_u32_e32 vcc, 7, v57
	v_cndmask_b32_e32 v62, 13, v62, vcc
	v_lshrrev_b32_e32 v63, 16, v19
	v_cmp_ne_u32_e32 vcc, 6, v57
	v_lshlrev_b16_e32 v62, 8, v62
	v_cndmask_b32_e32 v57, 13, v63, vcc
	v_and_b32_e32 v58, 0x2000, v28
	v_or_b32_sdwa v57, v57, v62 dst_sel:WORD_1 dst_unused:UNUSED_PAD src0_sel:BYTE_0 src1_sel:DWORD
	v_or_b32_sdwa v57, v61, v57 dst_sel:DWORD dst_unused:UNUSED_PAD src0_sel:WORD_0 src1_sel:DWORD
	v_cmp_eq_u32_e32 vcc, 0, v58
	v_cndmask_b32_e32 v18, v24, v18, vcc
	v_cndmask_b32_e32 v19, v57, v19, vcc
	;; [unrolled: 1-line block ×6, first 2 shown]
	v_cmp_ne_u32_e32 vcc, 0, v55
	v_cndmask_b32_e32 v24, 14, v18, vcc
	v_lshrrev_b32_e32 v25, 8, v18
	v_cmp_ne_u32_e32 vcc, 1, v55
	v_cndmask_b32_e32 v25, 14, v25, vcc
	v_lshlrev_b16_e32 v25, 8, v25
	v_or_b32_sdwa v24, v24, v25 dst_sel:DWORD dst_unused:UNUSED_PAD src0_sel:BYTE_0 src1_sel:DWORD
	v_lshrrev_b32_e32 v25, 24, v18
	v_cmp_ne_u32_e32 vcc, 3, v55
	v_cndmask_b32_e32 v25, 14, v25, vcc
	v_lshrrev_b32_e32 v26, 16, v18
	v_cmp_ne_u32_e32 vcc, 2, v55
	v_lshlrev_b16_e32 v25, 8, v25
	v_cndmask_b32_e32 v26, 14, v26, vcc
	v_or_b32_sdwa v25, v26, v25 dst_sel:WORD_1 dst_unused:UNUSED_PAD src0_sel:BYTE_0 src1_sel:DWORD
	v_cmp_ne_u32_e32 vcc, 20, v55
	v_or_b32_sdwa v24, v24, v25 dst_sel:DWORD dst_unused:UNUSED_PAD src0_sel:WORD_0 src1_sel:DWORD
	v_cndmask_b32_e32 v25, 14, v23, vcc
	v_lshrrev_b32_e32 v26, 8, v23
	v_cmp_ne_u32_e32 vcc, 21, v55
	v_cndmask_b32_e32 v26, 14, v26, vcc
	v_lshlrev_b16_e32 v26, 8, v26
	v_or_b32_sdwa v25, v25, v26 dst_sel:DWORD dst_unused:UNUSED_PAD src0_sel:BYTE_0 src1_sel:DWORD
	v_lshrrev_b32_e32 v26, 24, v23
	v_cmp_ne_u32_e32 vcc, 23, v55
	v_cndmask_b32_e32 v26, 14, v26, vcc
	v_lshrrev_b32_e32 v57, 16, v23
	v_cmp_ne_u32_e32 vcc, 22, v55
	v_lshlrev_b16_e32 v26, 8, v26
	v_cndmask_b32_e32 v57, 14, v57, vcc
	v_or_b32_sdwa v26, v57, v26 dst_sel:WORD_1 dst_unused:UNUSED_PAD src0_sel:BYTE_0 src1_sel:DWORD
	v_cmp_ne_u32_e32 vcc, 16, v55
	v_or_b32_sdwa v25, v25, v26 dst_sel:DWORD dst_unused:UNUSED_PAD src0_sel:WORD_0 src1_sel:DWORD
	;; [unrolled: 16-line block ×5, first 2 shown]
	v_cndmask_b32_e32 v59, 14, v19, vcc
	v_lshrrev_b32_e32 v60, 8, v19
	v_cmp_ne_u32_e32 vcc, 5, v55
	v_cndmask_b32_e32 v60, 14, v60, vcc
	v_lshlrev_b16_e32 v60, 8, v60
	v_or_b32_sdwa v59, v59, v60 dst_sel:DWORD dst_unused:UNUSED_PAD src0_sel:BYTE_0 src1_sel:DWORD
	v_lshrrev_b32_e32 v60, 24, v19
	v_cmp_ne_u32_e32 vcc, 7, v55
	v_cndmask_b32_e32 v60, 14, v60, vcc
	v_lshrrev_b32_e32 v61, 16, v19
	v_cmp_ne_u32_e32 vcc, 6, v55
	v_lshlrev_b16_e32 v60, 8, v60
	v_cndmask_b32_e32 v55, 14, v61, vcc
	v_and_b32_e32 v56, 0x4000, v28
	v_or_b32_sdwa v55, v55, v60 dst_sel:WORD_1 dst_unused:UNUSED_PAD src0_sel:BYTE_0 src1_sel:DWORD
	v_or_b32_sdwa v55, v59, v55 dst_sel:DWORD dst_unused:UNUSED_PAD src0_sel:WORD_0 src1_sel:DWORD
	v_cmp_eq_u32_e32 vcc, 0, v56
	v_cndmask_b32_e32 v18, v24, v18, vcc
	v_cndmask_b32_e32 v19, v55, v19, vcc
	;; [unrolled: 1-line block ×6, first 2 shown]
	v_cmp_ne_u32_e32 vcc, 0, v53
	v_cndmask_b32_e32 v24, 15, v18, vcc
	v_lshrrev_b32_e32 v25, 8, v18
	v_cmp_ne_u32_e32 vcc, 1, v53
	v_cndmask_b32_e32 v25, 15, v25, vcc
	v_lshlrev_b16_e32 v25, 8, v25
	v_or_b32_sdwa v24, v24, v25 dst_sel:DWORD dst_unused:UNUSED_PAD src0_sel:BYTE_0 src1_sel:DWORD
	v_lshrrev_b32_e32 v25, 24, v18
	v_cmp_ne_u32_e32 vcc, 3, v53
	v_cndmask_b32_e32 v25, 15, v25, vcc
	v_lshrrev_b32_e32 v26, 16, v18
	v_cmp_ne_u32_e32 vcc, 2, v53
	v_lshlrev_b16_e32 v25, 8, v25
	v_cndmask_b32_e32 v26, 15, v26, vcc
	v_or_b32_sdwa v25, v26, v25 dst_sel:WORD_1 dst_unused:UNUSED_PAD src0_sel:BYTE_0 src1_sel:DWORD
	v_cmp_ne_u32_e32 vcc, 20, v53
	v_or_b32_sdwa v24, v24, v25 dst_sel:DWORD dst_unused:UNUSED_PAD src0_sel:WORD_0 src1_sel:DWORD
	v_cndmask_b32_e32 v25, 15, v23, vcc
	v_lshrrev_b32_e32 v26, 8, v23
	v_cmp_ne_u32_e32 vcc, 21, v53
	v_cndmask_b32_e32 v26, 15, v26, vcc
	v_lshlrev_b16_e32 v26, 8, v26
	v_or_b32_sdwa v25, v25, v26 dst_sel:DWORD dst_unused:UNUSED_PAD src0_sel:BYTE_0 src1_sel:DWORD
	v_lshrrev_b32_e32 v26, 24, v23
	v_cmp_ne_u32_e32 vcc, 23, v53
	v_cndmask_b32_e32 v26, 15, v26, vcc
	v_lshrrev_b32_e32 v55, 16, v23
	v_cmp_ne_u32_e32 vcc, 22, v53
	v_lshlrev_b16_e32 v26, 8, v26
	v_cndmask_b32_e32 v55, 15, v55, vcc
	v_or_b32_sdwa v26, v55, v26 dst_sel:WORD_1 dst_unused:UNUSED_PAD src0_sel:BYTE_0 src1_sel:DWORD
	v_cmp_ne_u32_e32 vcc, 16, v53
	v_or_b32_sdwa v25, v25, v26 dst_sel:DWORD dst_unused:UNUSED_PAD src0_sel:WORD_0 src1_sel:DWORD
	;; [unrolled: 16-line block ×5, first 2 shown]
	v_cndmask_b32_e32 v57, 15, v19, vcc
	v_lshrrev_b32_e32 v58, 8, v19
	v_cmp_ne_u32_e32 vcc, 5, v53
	v_cndmask_b32_e32 v58, 15, v58, vcc
	v_lshlrev_b16_e32 v58, 8, v58
	v_or_b32_sdwa v57, v57, v58 dst_sel:DWORD dst_unused:UNUSED_PAD src0_sel:BYTE_0 src1_sel:DWORD
	v_lshrrev_b32_e32 v58, 24, v19
	v_cmp_ne_u32_e32 vcc, 7, v53
	v_cndmask_b32_e32 v58, 15, v58, vcc
	v_lshrrev_b32_e32 v59, 16, v19
	v_cmp_ne_u32_e32 vcc, 6, v53
	v_lshlrev_b16_e32 v58, 8, v58
	v_cndmask_b32_e32 v53, 15, v59, vcc
	v_and_b32_e32 v54, 0x8000, v28
	v_or_b32_sdwa v53, v53, v58 dst_sel:WORD_1 dst_unused:UNUSED_PAD src0_sel:BYTE_0 src1_sel:DWORD
	v_or_b32_sdwa v53, v57, v53 dst_sel:DWORD dst_unused:UNUSED_PAD src0_sel:WORD_0 src1_sel:DWORD
	v_cmp_eq_u32_e32 vcc, 0, v54
	v_cndmask_b32_e32 v18, v24, v18, vcc
	v_cndmask_b32_e32 v19, v53, v19, vcc
	;; [unrolled: 1-line block ×6, first 2 shown]
	v_cmp_ne_u32_e32 vcc, 0, v51
	v_cndmask_b32_e32 v24, 16, v18, vcc
	v_lshrrev_b32_e32 v25, 8, v18
	v_cmp_ne_u32_e32 vcc, 1, v51
	v_cndmask_b32_e32 v25, 16, v25, vcc
	v_lshlrev_b16_e32 v25, 8, v25
	v_or_b32_sdwa v24, v24, v25 dst_sel:DWORD dst_unused:UNUSED_PAD src0_sel:BYTE_0 src1_sel:DWORD
	v_lshrrev_b32_e32 v25, 24, v18
	v_cmp_ne_u32_e32 vcc, 3, v51
	v_cndmask_b32_e32 v25, 16, v25, vcc
	v_lshrrev_b32_e32 v26, 16, v18
	v_cmp_ne_u32_e32 vcc, 2, v51
	v_lshlrev_b16_e32 v25, 8, v25
	v_cndmask_b32_e32 v26, 16, v26, vcc
	v_or_b32_sdwa v25, v26, v25 dst_sel:WORD_1 dst_unused:UNUSED_PAD src0_sel:BYTE_0 src1_sel:DWORD
	v_cmp_ne_u32_e32 vcc, 20, v51
	v_or_b32_sdwa v24, v24, v25 dst_sel:DWORD dst_unused:UNUSED_PAD src0_sel:WORD_0 src1_sel:DWORD
	v_cndmask_b32_e32 v25, 16, v23, vcc
	v_lshrrev_b32_e32 v26, 8, v23
	v_cmp_ne_u32_e32 vcc, 21, v51
	v_cndmask_b32_e32 v26, 16, v26, vcc
	v_lshlrev_b16_e32 v26, 8, v26
	v_or_b32_sdwa v25, v25, v26 dst_sel:DWORD dst_unused:UNUSED_PAD src0_sel:BYTE_0 src1_sel:DWORD
	v_lshrrev_b32_e32 v26, 24, v23
	v_cmp_ne_u32_e32 vcc, 23, v51
	v_cndmask_b32_e32 v26, 16, v26, vcc
	v_lshrrev_b32_e32 v53, 16, v23
	v_cmp_ne_u32_e32 vcc, 22, v51
	v_lshlrev_b16_e32 v26, 8, v26
	v_cndmask_b32_e32 v53, 16, v53, vcc
	v_or_b32_sdwa v26, v53, v26 dst_sel:WORD_1 dst_unused:UNUSED_PAD src0_sel:BYTE_0 src1_sel:DWORD
	v_cmp_ne_u32_e32 vcc, 16, v51
	v_or_b32_sdwa v25, v25, v26 dst_sel:DWORD dst_unused:UNUSED_PAD src0_sel:WORD_0 src1_sel:DWORD
	;; [unrolled: 16-line block ×5, first 2 shown]
	v_cndmask_b32_e32 v55, 16, v19, vcc
	v_lshrrev_b32_e32 v56, 8, v19
	v_cmp_ne_u32_e32 vcc, 5, v51
	v_cndmask_b32_e32 v56, 16, v56, vcc
	v_lshlrev_b16_e32 v56, 8, v56
	v_or_b32_sdwa v55, v55, v56 dst_sel:DWORD dst_unused:UNUSED_PAD src0_sel:BYTE_0 src1_sel:DWORD
	v_lshrrev_b32_e32 v56, 24, v19
	v_cmp_ne_u32_e32 vcc, 7, v51
	v_cndmask_b32_e32 v56, 16, v56, vcc
	v_lshrrev_b32_e32 v57, 16, v19
	v_cmp_ne_u32_e32 vcc, 6, v51
	v_lshlrev_b16_e32 v56, 8, v56
	v_cndmask_b32_e32 v51, 16, v57, vcc
	v_and_b32_e32 v52, 0x10000, v28
	v_or_b32_sdwa v51, v51, v56 dst_sel:WORD_1 dst_unused:UNUSED_PAD src0_sel:BYTE_0 src1_sel:DWORD
	v_or_b32_sdwa v51, v55, v51 dst_sel:DWORD dst_unused:UNUSED_PAD src0_sel:WORD_0 src1_sel:DWORD
	v_cmp_eq_u32_e32 vcc, 0, v52
	v_cndmask_b32_e32 v18, v24, v18, vcc
	v_cndmask_b32_e32 v19, v51, v19, vcc
	;; [unrolled: 1-line block ×6, first 2 shown]
	v_cmp_ne_u32_e32 vcc, 0, v49
	v_cndmask_b32_e32 v24, 17, v18, vcc
	v_lshrrev_b32_e32 v25, 8, v18
	v_cmp_ne_u32_e32 vcc, 1, v49
	v_cndmask_b32_e32 v25, 17, v25, vcc
	v_lshlrev_b16_e32 v25, 8, v25
	v_or_b32_sdwa v24, v24, v25 dst_sel:DWORD dst_unused:UNUSED_PAD src0_sel:BYTE_0 src1_sel:DWORD
	v_lshrrev_b32_e32 v25, 24, v18
	v_cmp_ne_u32_e32 vcc, 3, v49
	v_cndmask_b32_e32 v25, 17, v25, vcc
	v_lshrrev_b32_e32 v26, 16, v18
	v_cmp_ne_u32_e32 vcc, 2, v49
	v_lshlrev_b16_e32 v25, 8, v25
	v_cndmask_b32_e32 v26, 17, v26, vcc
	v_or_b32_sdwa v25, v26, v25 dst_sel:WORD_1 dst_unused:UNUSED_PAD src0_sel:BYTE_0 src1_sel:DWORD
	v_cmp_ne_u32_e32 vcc, 20, v49
	v_or_b32_sdwa v24, v24, v25 dst_sel:DWORD dst_unused:UNUSED_PAD src0_sel:WORD_0 src1_sel:DWORD
	v_cndmask_b32_e32 v25, 17, v23, vcc
	v_lshrrev_b32_e32 v26, 8, v23
	v_cmp_ne_u32_e32 vcc, 21, v49
	v_cndmask_b32_e32 v26, 17, v26, vcc
	v_lshlrev_b16_e32 v26, 8, v26
	v_or_b32_sdwa v25, v25, v26 dst_sel:DWORD dst_unused:UNUSED_PAD src0_sel:BYTE_0 src1_sel:DWORD
	v_lshrrev_b32_e32 v26, 24, v23
	v_cmp_ne_u32_e32 vcc, 23, v49
	v_cndmask_b32_e32 v26, 17, v26, vcc
	v_lshrrev_b32_e32 v51, 16, v23
	v_cmp_ne_u32_e32 vcc, 22, v49
	v_lshlrev_b16_e32 v26, 8, v26
	v_cndmask_b32_e32 v51, 17, v51, vcc
	v_or_b32_sdwa v26, v51, v26 dst_sel:WORD_1 dst_unused:UNUSED_PAD src0_sel:BYTE_0 src1_sel:DWORD
	v_cmp_ne_u32_e32 vcc, 16, v49
	v_or_b32_sdwa v25, v25, v26 dst_sel:DWORD dst_unused:UNUSED_PAD src0_sel:WORD_0 src1_sel:DWORD
	;; [unrolled: 16-line block ×5, first 2 shown]
	v_cndmask_b32_e32 v53, 17, v19, vcc
	v_lshrrev_b32_e32 v54, 8, v19
	v_cmp_ne_u32_e32 vcc, 5, v49
	v_cndmask_b32_e32 v54, 17, v54, vcc
	v_lshlrev_b16_e32 v54, 8, v54
	v_or_b32_sdwa v53, v53, v54 dst_sel:DWORD dst_unused:UNUSED_PAD src0_sel:BYTE_0 src1_sel:DWORD
	v_lshrrev_b32_e32 v54, 24, v19
	v_cmp_ne_u32_e32 vcc, 7, v49
	v_cndmask_b32_e32 v54, 17, v54, vcc
	v_lshrrev_b32_e32 v55, 16, v19
	v_cmp_ne_u32_e32 vcc, 6, v49
	v_lshlrev_b16_e32 v54, 8, v54
	v_cndmask_b32_e32 v49, 17, v55, vcc
	v_and_b32_e32 v50, 0x20000, v28
	v_or_b32_sdwa v49, v49, v54 dst_sel:WORD_1 dst_unused:UNUSED_PAD src0_sel:BYTE_0 src1_sel:DWORD
	v_or_b32_sdwa v49, v53, v49 dst_sel:DWORD dst_unused:UNUSED_PAD src0_sel:WORD_0 src1_sel:DWORD
	v_cmp_eq_u32_e32 vcc, 0, v50
	v_cndmask_b32_e32 v18, v24, v18, vcc
	v_cndmask_b32_e32 v19, v49, v19, vcc
	;; [unrolled: 1-line block ×6, first 2 shown]
	v_cmp_ne_u32_e32 vcc, 0, v47
	v_cndmask_b32_e32 v24, 18, v18, vcc
	v_lshrrev_b32_e32 v25, 8, v18
	v_cmp_ne_u32_e32 vcc, 1, v47
	v_cndmask_b32_e32 v25, 18, v25, vcc
	v_lshlrev_b16_e32 v25, 8, v25
	v_or_b32_sdwa v24, v24, v25 dst_sel:DWORD dst_unused:UNUSED_PAD src0_sel:BYTE_0 src1_sel:DWORD
	v_lshrrev_b32_e32 v25, 24, v18
	v_cmp_ne_u32_e32 vcc, 3, v47
	v_cndmask_b32_e32 v25, 18, v25, vcc
	v_lshrrev_b32_e32 v26, 16, v18
	v_cmp_ne_u32_e32 vcc, 2, v47
	v_lshlrev_b16_e32 v25, 8, v25
	v_cndmask_b32_e32 v26, 18, v26, vcc
	v_or_b32_sdwa v25, v26, v25 dst_sel:WORD_1 dst_unused:UNUSED_PAD src0_sel:BYTE_0 src1_sel:DWORD
	v_cmp_ne_u32_e32 vcc, 20, v47
	v_or_b32_sdwa v24, v24, v25 dst_sel:DWORD dst_unused:UNUSED_PAD src0_sel:WORD_0 src1_sel:DWORD
	v_cndmask_b32_e32 v25, 18, v23, vcc
	v_lshrrev_b32_e32 v26, 8, v23
	v_cmp_ne_u32_e32 vcc, 21, v47
	v_cndmask_b32_e32 v26, 18, v26, vcc
	v_lshlrev_b16_e32 v26, 8, v26
	v_or_b32_sdwa v25, v25, v26 dst_sel:DWORD dst_unused:UNUSED_PAD src0_sel:BYTE_0 src1_sel:DWORD
	v_lshrrev_b32_e32 v26, 24, v23
	v_cmp_ne_u32_e32 vcc, 23, v47
	v_cndmask_b32_e32 v26, 18, v26, vcc
	v_lshrrev_b32_e32 v49, 16, v23
	v_cmp_ne_u32_e32 vcc, 22, v47
	v_lshlrev_b16_e32 v26, 8, v26
	v_cndmask_b32_e32 v49, 18, v49, vcc
	v_or_b32_sdwa v26, v49, v26 dst_sel:WORD_1 dst_unused:UNUSED_PAD src0_sel:BYTE_0 src1_sel:DWORD
	v_cmp_ne_u32_e32 vcc, 16, v47
	v_or_b32_sdwa v25, v25, v26 dst_sel:DWORD dst_unused:UNUSED_PAD src0_sel:WORD_0 src1_sel:DWORD
	v_cndmask_b32_e32 v26, 18, v22, vcc
	v_lshrrev_b32_e32 v49, 8, v22
	v_cmp_ne_u32_e32 vcc, 17, v47
	v_cndmask_b32_e32 v49, 18, v49, vcc
	v_lshlrev_b16_e32 v49, 8, v49
	v_or_b32_sdwa v26, v26, v49 dst_sel:DWORD dst_unused:UNUSED_PAD src0_sel:BYTE_0 src1_sel:DWORD
	v_lshrrev_b32_e32 v49, 24, v22
	v_cmp_ne_u32_e32 vcc, 19, v47
	v_cndmask_b32_e32 v49, 18, v49, vcc
	v_lshrrev_b32_e32 v50, 16, v22
	v_cmp_ne_u32_e32 vcc, 18, v47
	v_lshlrev_b16_e32 v49, 8, v49
	v_cndmask_b32_e32 v50, 18, v50, vcc
	v_or_b32_sdwa v49, v50, v49 dst_sel:WORD_1 dst_unused:UNUSED_PAD src0_sel:BYTE_0 src1_sel:DWORD
	v_cmp_ne_u32_e32 vcc, 12, v47
	v_or_b32_sdwa v26, v26, v49 dst_sel:DWORD dst_unused:UNUSED_PAD src0_sel:WORD_0 src1_sel:DWORD
	v_cndmask_b32_e32 v49, 18, v21, vcc
	v_lshrrev_b32_e32 v50, 8, v21
	v_cmp_ne_u32_e32 vcc, 13, v47
	v_cndmask_b32_e32 v50, 18, v50, vcc
	v_lshlrev_b16_e32 v50, 8, v50
	v_or_b32_sdwa v49, v49, v50 dst_sel:DWORD dst_unused:UNUSED_PAD src0_sel:BYTE_0 src1_sel:DWORD
	v_lshrrev_b32_e32 v50, 24, v21
	v_cmp_ne_u32_e32 vcc, 15, v47
	v_cndmask_b32_e32 v50, 18, v50, vcc
	v_lshrrev_b32_e32 v51, 16, v21
	v_cmp_ne_u32_e32 vcc, 14, v47
	v_lshlrev_b16_e32 v50, 8, v50
	v_cndmask_b32_e32 v51, 18, v51, vcc
	v_or_b32_sdwa v50, v51, v50 dst_sel:WORD_1 dst_unused:UNUSED_PAD src0_sel:BYTE_0 src1_sel:DWORD
	v_cmp_ne_u32_e32 vcc, 8, v47
	v_or_b32_sdwa v49, v49, v50 dst_sel:DWORD dst_unused:UNUSED_PAD src0_sel:WORD_0 src1_sel:DWORD
	v_cndmask_b32_e32 v50, 18, v20, vcc
	v_lshrrev_b32_e32 v51, 8, v20
	v_cmp_ne_u32_e32 vcc, 9, v47
	v_cndmask_b32_e32 v51, 18, v51, vcc
	v_lshlrev_b16_e32 v51, 8, v51
	v_or_b32_sdwa v50, v50, v51 dst_sel:DWORD dst_unused:UNUSED_PAD src0_sel:BYTE_0 src1_sel:DWORD
	v_lshrrev_b32_e32 v51, 24, v20
	v_cmp_ne_u32_e32 vcc, 11, v47
	v_cndmask_b32_e32 v51, 18, v51, vcc
	v_lshrrev_b32_e32 v52, 16, v20
	v_cmp_ne_u32_e32 vcc, 10, v47
	v_lshlrev_b16_e32 v51, 8, v51
	v_cndmask_b32_e32 v52, 18, v52, vcc
	v_or_b32_sdwa v51, v52, v51 dst_sel:WORD_1 dst_unused:UNUSED_PAD src0_sel:BYTE_0 src1_sel:DWORD
	v_cmp_ne_u32_e32 vcc, 4, v47
	v_or_b32_sdwa v50, v50, v51 dst_sel:DWORD dst_unused:UNUSED_PAD src0_sel:WORD_0 src1_sel:DWORD
	v_cndmask_b32_e32 v51, 18, v19, vcc
	v_lshrrev_b32_e32 v52, 8, v19
	v_cmp_ne_u32_e32 vcc, 5, v47
	v_cndmask_b32_e32 v52, 18, v52, vcc
	v_lshlrev_b16_e32 v52, 8, v52
	v_or_b32_sdwa v51, v51, v52 dst_sel:DWORD dst_unused:UNUSED_PAD src0_sel:BYTE_0 src1_sel:DWORD
	v_lshrrev_b32_e32 v52, 24, v19
	v_cmp_ne_u32_e32 vcc, 7, v47
	v_cndmask_b32_e32 v52, 18, v52, vcc
	v_lshrrev_b32_e32 v53, 16, v19
	v_cmp_ne_u32_e32 vcc, 6, v47
	v_lshlrev_b16_e32 v52, 8, v52
	v_cndmask_b32_e32 v47, 18, v53, vcc
	v_and_b32_e32 v48, 0x40000, v28
	v_or_b32_sdwa v47, v47, v52 dst_sel:WORD_1 dst_unused:UNUSED_PAD src0_sel:BYTE_0 src1_sel:DWORD
	v_or_b32_sdwa v47, v51, v47 dst_sel:DWORD dst_unused:UNUSED_PAD src0_sel:WORD_0 src1_sel:DWORD
	v_cmp_eq_u32_e32 vcc, 0, v48
	v_cndmask_b32_e32 v18, v24, v18, vcc
	v_cndmask_b32_e32 v19, v47, v19, vcc
	;; [unrolled: 1-line block ×6, first 2 shown]
	v_cmp_ne_u32_e32 vcc, 0, v45
	v_cndmask_b32_e32 v24, 19, v18, vcc
	v_lshrrev_b32_e32 v25, 8, v18
	v_cmp_ne_u32_e32 vcc, 1, v45
	v_cndmask_b32_e32 v25, 19, v25, vcc
	v_lshlrev_b16_e32 v25, 8, v25
	v_or_b32_sdwa v24, v24, v25 dst_sel:DWORD dst_unused:UNUSED_PAD src0_sel:BYTE_0 src1_sel:DWORD
	v_lshrrev_b32_e32 v25, 24, v18
	v_cmp_ne_u32_e32 vcc, 3, v45
	v_cndmask_b32_e32 v25, 19, v25, vcc
	v_lshrrev_b32_e32 v26, 16, v18
	v_cmp_ne_u32_e32 vcc, 2, v45
	v_lshlrev_b16_e32 v25, 8, v25
	v_cndmask_b32_e32 v26, 19, v26, vcc
	v_or_b32_sdwa v25, v26, v25 dst_sel:WORD_1 dst_unused:UNUSED_PAD src0_sel:BYTE_0 src1_sel:DWORD
	v_cmp_ne_u32_e32 vcc, 20, v45
	v_or_b32_sdwa v24, v24, v25 dst_sel:DWORD dst_unused:UNUSED_PAD src0_sel:WORD_0 src1_sel:DWORD
	v_cndmask_b32_e32 v25, 19, v23, vcc
	v_lshrrev_b32_e32 v26, 8, v23
	v_cmp_ne_u32_e32 vcc, 21, v45
	v_cndmask_b32_e32 v26, 19, v26, vcc
	v_lshlrev_b16_e32 v26, 8, v26
	v_or_b32_sdwa v25, v25, v26 dst_sel:DWORD dst_unused:UNUSED_PAD src0_sel:BYTE_0 src1_sel:DWORD
	v_lshrrev_b32_e32 v26, 24, v23
	v_cmp_ne_u32_e32 vcc, 23, v45
	v_cndmask_b32_e32 v26, 19, v26, vcc
	v_lshrrev_b32_e32 v47, 16, v23
	v_cmp_ne_u32_e32 vcc, 22, v45
	v_lshlrev_b16_e32 v26, 8, v26
	v_cndmask_b32_e32 v47, 19, v47, vcc
	v_or_b32_sdwa v26, v47, v26 dst_sel:WORD_1 dst_unused:UNUSED_PAD src0_sel:BYTE_0 src1_sel:DWORD
	v_cmp_ne_u32_e32 vcc, 16, v45
	v_or_b32_sdwa v25, v25, v26 dst_sel:DWORD dst_unused:UNUSED_PAD src0_sel:WORD_0 src1_sel:DWORD
	v_cndmask_b32_e32 v26, 19, v22, vcc
	v_lshrrev_b32_e32 v47, 8, v22
	v_cmp_ne_u32_e32 vcc, 17, v45
	v_cndmask_b32_e32 v47, 19, v47, vcc
	v_lshlrev_b16_e32 v47, 8, v47
	v_or_b32_sdwa v26, v26, v47 dst_sel:DWORD dst_unused:UNUSED_PAD src0_sel:BYTE_0 src1_sel:DWORD
	v_lshrrev_b32_e32 v47, 24, v22
	v_cmp_ne_u32_e32 vcc, 19, v45
	v_cndmask_b32_e32 v47, 19, v47, vcc
	v_lshrrev_b32_e32 v48, 16, v22
	v_cmp_ne_u32_e32 vcc, 18, v45
	v_lshlrev_b16_e32 v47, 8, v47
	v_cndmask_b32_e32 v48, 19, v48, vcc
	v_or_b32_sdwa v47, v48, v47 dst_sel:WORD_1 dst_unused:UNUSED_PAD src0_sel:BYTE_0 src1_sel:DWORD
	v_cmp_ne_u32_e32 vcc, 12, v45
	v_or_b32_sdwa v26, v26, v47 dst_sel:DWORD dst_unused:UNUSED_PAD src0_sel:WORD_0 src1_sel:DWORD
	v_cndmask_b32_e32 v47, 19, v21, vcc
	v_lshrrev_b32_e32 v48, 8, v21
	v_cmp_ne_u32_e32 vcc, 13, v45
	v_cndmask_b32_e32 v48, 19, v48, vcc
	v_lshlrev_b16_e32 v48, 8, v48
	v_or_b32_sdwa v47, v47, v48 dst_sel:DWORD dst_unused:UNUSED_PAD src0_sel:BYTE_0 src1_sel:DWORD
	v_lshrrev_b32_e32 v48, 24, v21
	v_cmp_ne_u32_e32 vcc, 15, v45
	v_cndmask_b32_e32 v48, 19, v48, vcc
	v_lshrrev_b32_e32 v49, 16, v21
	v_cmp_ne_u32_e32 vcc, 14, v45
	v_lshlrev_b16_e32 v48, 8, v48
	v_cndmask_b32_e32 v49, 19, v49, vcc
	v_or_b32_sdwa v48, v49, v48 dst_sel:WORD_1 dst_unused:UNUSED_PAD src0_sel:BYTE_0 src1_sel:DWORD
	v_cmp_ne_u32_e32 vcc, 8, v45
	v_or_b32_sdwa v47, v47, v48 dst_sel:DWORD dst_unused:UNUSED_PAD src0_sel:WORD_0 src1_sel:DWORD
	v_cndmask_b32_e32 v48, 19, v20, vcc
	v_lshrrev_b32_e32 v49, 8, v20
	v_cmp_ne_u32_e32 vcc, 9, v45
	v_cndmask_b32_e32 v49, 19, v49, vcc
	v_lshlrev_b16_e32 v49, 8, v49
	v_or_b32_sdwa v48, v48, v49 dst_sel:DWORD dst_unused:UNUSED_PAD src0_sel:BYTE_0 src1_sel:DWORD
	v_lshrrev_b32_e32 v49, 24, v20
	v_cmp_ne_u32_e32 vcc, 11, v45
	v_cndmask_b32_e32 v49, 19, v49, vcc
	v_lshrrev_b32_e32 v50, 16, v20
	v_cmp_ne_u32_e32 vcc, 10, v45
	v_lshlrev_b16_e32 v49, 8, v49
	v_cndmask_b32_e32 v50, 19, v50, vcc
	v_or_b32_sdwa v49, v50, v49 dst_sel:WORD_1 dst_unused:UNUSED_PAD src0_sel:BYTE_0 src1_sel:DWORD
	v_cmp_ne_u32_e32 vcc, 4, v45
	v_or_b32_sdwa v48, v48, v49 dst_sel:DWORD dst_unused:UNUSED_PAD src0_sel:WORD_0 src1_sel:DWORD
	v_cndmask_b32_e32 v49, 19, v19, vcc
	v_lshrrev_b32_e32 v50, 8, v19
	v_cmp_ne_u32_e32 vcc, 5, v45
	v_cndmask_b32_e32 v50, 19, v50, vcc
	v_lshlrev_b16_e32 v50, 8, v50
	v_or_b32_sdwa v49, v49, v50 dst_sel:DWORD dst_unused:UNUSED_PAD src0_sel:BYTE_0 src1_sel:DWORD
	v_lshrrev_b32_e32 v50, 24, v19
	v_cmp_ne_u32_e32 vcc, 7, v45
	v_cndmask_b32_e32 v50, 19, v50, vcc
	v_lshrrev_b32_e32 v51, 16, v19
	v_cmp_ne_u32_e32 vcc, 6, v45
	v_lshlrev_b16_e32 v50, 8, v50
	v_cndmask_b32_e32 v45, 19, v51, vcc
	v_and_b32_e32 v46, 0x80000, v28
	v_or_b32_sdwa v45, v45, v50 dst_sel:WORD_1 dst_unused:UNUSED_PAD src0_sel:BYTE_0 src1_sel:DWORD
	v_or_b32_sdwa v45, v49, v45 dst_sel:DWORD dst_unused:UNUSED_PAD src0_sel:WORD_0 src1_sel:DWORD
	v_cmp_eq_u32_e32 vcc, 0, v46
	v_cndmask_b32_e32 v18, v24, v18, vcc
	v_cndmask_b32_e32 v19, v45, v19, vcc
	v_cndmask_b32_e32 v20, v48, v20, vcc
	v_cndmask_b32_e32 v21, v47, v21, vcc
	v_cndmask_b32_e32 v22, v26, v22, vcc
	v_cndmask_b32_e32 v23, v25, v23, vcc
	v_cmp_ne_u32_e32 vcc, 0, v43
	v_cndmask_b32_e32 v24, 20, v18, vcc
	v_lshrrev_b32_e32 v25, 8, v18
	v_cmp_ne_u32_e32 vcc, 1, v43
	v_cndmask_b32_e32 v25, 20, v25, vcc
	v_lshlrev_b16_e32 v25, 8, v25
	v_or_b32_sdwa v24, v24, v25 dst_sel:DWORD dst_unused:UNUSED_PAD src0_sel:BYTE_0 src1_sel:DWORD
	v_lshrrev_b32_e32 v25, 24, v18
	v_cmp_ne_u32_e32 vcc, 3, v43
	v_cndmask_b32_e32 v25, 20, v25, vcc
	v_lshrrev_b32_e32 v26, 16, v18
	v_cmp_ne_u32_e32 vcc, 2, v43
	v_lshlrev_b16_e32 v25, 8, v25
	v_cndmask_b32_e32 v26, 20, v26, vcc
	v_or_b32_sdwa v25, v26, v25 dst_sel:WORD_1 dst_unused:UNUSED_PAD src0_sel:BYTE_0 src1_sel:DWORD
	v_cmp_ne_u32_e32 vcc, 20, v43
	v_or_b32_sdwa v24, v24, v25 dst_sel:DWORD dst_unused:UNUSED_PAD src0_sel:WORD_0 src1_sel:DWORD
	v_cndmask_b32_e32 v25, 20, v23, vcc
	v_lshrrev_b32_e32 v26, 8, v23
	v_cmp_ne_u32_e32 vcc, 21, v43
	v_cndmask_b32_e32 v26, 20, v26, vcc
	v_lshlrev_b16_e32 v26, 8, v26
	v_or_b32_sdwa v25, v25, v26 dst_sel:DWORD dst_unused:UNUSED_PAD src0_sel:BYTE_0 src1_sel:DWORD
	v_lshrrev_b32_e32 v26, 24, v23
	v_cmp_ne_u32_e32 vcc, 23, v43
	v_cndmask_b32_e32 v26, 20, v26, vcc
	v_lshrrev_b32_e32 v45, 16, v23
	v_cmp_ne_u32_e32 vcc, 22, v43
	v_lshlrev_b16_e32 v26, 8, v26
	v_cndmask_b32_e32 v45, 20, v45, vcc
	v_or_b32_sdwa v26, v45, v26 dst_sel:WORD_1 dst_unused:UNUSED_PAD src0_sel:BYTE_0 src1_sel:DWORD
	v_cmp_ne_u32_e32 vcc, 16, v43
	v_or_b32_sdwa v25, v25, v26 dst_sel:DWORD dst_unused:UNUSED_PAD src0_sel:WORD_0 src1_sel:DWORD
	v_cndmask_b32_e32 v26, 20, v22, vcc
	v_lshrrev_b32_e32 v45, 8, v22
	v_cmp_ne_u32_e32 vcc, 17, v43
	v_cndmask_b32_e32 v45, 20, v45, vcc
	v_lshlrev_b16_e32 v45, 8, v45
	v_or_b32_sdwa v26, v26, v45 dst_sel:DWORD dst_unused:UNUSED_PAD src0_sel:BYTE_0 src1_sel:DWORD
	v_lshrrev_b32_e32 v45, 24, v22
	v_cmp_ne_u32_e32 vcc, 19, v43
	v_cndmask_b32_e32 v45, 20, v45, vcc
	v_lshrrev_b32_e32 v46, 16, v22
	v_cmp_ne_u32_e32 vcc, 18, v43
	v_lshlrev_b16_e32 v45, 8, v45
	v_cndmask_b32_e32 v46, 20, v46, vcc
	v_or_b32_sdwa v45, v46, v45 dst_sel:WORD_1 dst_unused:UNUSED_PAD src0_sel:BYTE_0 src1_sel:DWORD
	v_cmp_ne_u32_e32 vcc, 12, v43
	v_or_b32_sdwa v26, v26, v45 dst_sel:DWORD dst_unused:UNUSED_PAD src0_sel:WORD_0 src1_sel:DWORD
	v_cndmask_b32_e32 v45, 20, v21, vcc
	v_lshrrev_b32_e32 v46, 8, v21
	v_cmp_ne_u32_e32 vcc, 13, v43
	v_cndmask_b32_e32 v46, 20, v46, vcc
	v_lshlrev_b16_e32 v46, 8, v46
	v_or_b32_sdwa v45, v45, v46 dst_sel:DWORD dst_unused:UNUSED_PAD src0_sel:BYTE_0 src1_sel:DWORD
	v_lshrrev_b32_e32 v46, 24, v21
	v_cmp_ne_u32_e32 vcc, 15, v43
	v_cndmask_b32_e32 v46, 20, v46, vcc
	v_lshrrev_b32_e32 v47, 16, v21
	v_cmp_ne_u32_e32 vcc, 14, v43
	v_lshlrev_b16_e32 v46, 8, v46
	v_cndmask_b32_e32 v47, 20, v47, vcc
	v_or_b32_sdwa v46, v47, v46 dst_sel:WORD_1 dst_unused:UNUSED_PAD src0_sel:BYTE_0 src1_sel:DWORD
	v_cmp_ne_u32_e32 vcc, 8, v43
	v_or_b32_sdwa v45, v45, v46 dst_sel:DWORD dst_unused:UNUSED_PAD src0_sel:WORD_0 src1_sel:DWORD
	v_cndmask_b32_e32 v46, 20, v20, vcc
	v_lshrrev_b32_e32 v47, 8, v20
	v_cmp_ne_u32_e32 vcc, 9, v43
	v_cndmask_b32_e32 v47, 20, v47, vcc
	v_lshlrev_b16_e32 v47, 8, v47
	v_or_b32_sdwa v46, v46, v47 dst_sel:DWORD dst_unused:UNUSED_PAD src0_sel:BYTE_0 src1_sel:DWORD
	v_lshrrev_b32_e32 v47, 24, v20
	v_cmp_ne_u32_e32 vcc, 11, v43
	v_cndmask_b32_e32 v47, 20, v47, vcc
	v_lshrrev_b32_e32 v48, 16, v20
	v_cmp_ne_u32_e32 vcc, 10, v43
	v_lshlrev_b16_e32 v47, 8, v47
	v_cndmask_b32_e32 v48, 20, v48, vcc
	v_or_b32_sdwa v47, v48, v47 dst_sel:WORD_1 dst_unused:UNUSED_PAD src0_sel:BYTE_0 src1_sel:DWORD
	v_cmp_ne_u32_e32 vcc, 4, v43
	v_or_b32_sdwa v46, v46, v47 dst_sel:DWORD dst_unused:UNUSED_PAD src0_sel:WORD_0 src1_sel:DWORD
	v_cndmask_b32_e32 v47, 20, v19, vcc
	v_lshrrev_b32_e32 v48, 8, v19
	v_cmp_ne_u32_e32 vcc, 5, v43
	v_cndmask_b32_e32 v48, 20, v48, vcc
	v_lshlrev_b16_e32 v48, 8, v48
	v_or_b32_sdwa v47, v47, v48 dst_sel:DWORD dst_unused:UNUSED_PAD src0_sel:BYTE_0 src1_sel:DWORD
	v_lshrrev_b32_e32 v48, 24, v19
	v_cmp_ne_u32_e32 vcc, 7, v43
	v_cndmask_b32_e32 v48, 20, v48, vcc
	v_lshrrev_b32_e32 v49, 16, v19
	v_cmp_ne_u32_e32 vcc, 6, v43
	v_lshlrev_b16_e32 v48, 8, v48
	v_cndmask_b32_e32 v43, 20, v49, vcc
	v_and_b32_e32 v44, 0x100000, v28
	v_or_b32_sdwa v43, v43, v48 dst_sel:WORD_1 dst_unused:UNUSED_PAD src0_sel:BYTE_0 src1_sel:DWORD
	v_or_b32_sdwa v43, v47, v43 dst_sel:DWORD dst_unused:UNUSED_PAD src0_sel:WORD_0 src1_sel:DWORD
	v_cmp_eq_u32_e32 vcc, 0, v44
	v_cndmask_b32_e32 v18, v24, v18, vcc
	v_cndmask_b32_e32 v19, v43, v19, vcc
	;; [unrolled: 1-line block ×6, first 2 shown]
	v_cmp_ne_u32_e32 vcc, 0, v41
	v_cndmask_b32_e32 v24, 21, v18, vcc
	v_lshrrev_b32_e32 v25, 8, v18
	v_cmp_ne_u32_e32 vcc, 1, v41
	v_cndmask_b32_e32 v25, 21, v25, vcc
	v_lshlrev_b16_e32 v25, 8, v25
	v_or_b32_sdwa v24, v24, v25 dst_sel:DWORD dst_unused:UNUSED_PAD src0_sel:BYTE_0 src1_sel:DWORD
	v_lshrrev_b32_e32 v25, 24, v18
	v_cmp_ne_u32_e32 vcc, 3, v41
	v_cndmask_b32_e32 v25, 21, v25, vcc
	v_lshrrev_b32_e32 v26, 16, v18
	v_cmp_ne_u32_e32 vcc, 2, v41
	v_lshlrev_b16_e32 v25, 8, v25
	v_cndmask_b32_e32 v26, 21, v26, vcc
	v_or_b32_sdwa v25, v26, v25 dst_sel:WORD_1 dst_unused:UNUSED_PAD src0_sel:BYTE_0 src1_sel:DWORD
	v_cmp_ne_u32_e32 vcc, 20, v41
	v_or_b32_sdwa v24, v24, v25 dst_sel:DWORD dst_unused:UNUSED_PAD src0_sel:WORD_0 src1_sel:DWORD
	v_cndmask_b32_e32 v25, 21, v23, vcc
	v_lshrrev_b32_e32 v26, 8, v23
	v_cmp_ne_u32_e32 vcc, 21, v41
	v_cndmask_b32_e32 v26, 21, v26, vcc
	v_lshlrev_b16_e32 v26, 8, v26
	v_or_b32_sdwa v25, v25, v26 dst_sel:DWORD dst_unused:UNUSED_PAD src0_sel:BYTE_0 src1_sel:DWORD
	v_lshrrev_b32_e32 v26, 24, v23
	v_cmp_ne_u32_e32 vcc, 23, v41
	v_cndmask_b32_e32 v26, 21, v26, vcc
	v_lshrrev_b32_e32 v43, 16, v23
	v_cmp_ne_u32_e32 vcc, 22, v41
	v_lshlrev_b16_e32 v26, 8, v26
	v_cndmask_b32_e32 v43, 21, v43, vcc
	v_or_b32_sdwa v26, v43, v26 dst_sel:WORD_1 dst_unused:UNUSED_PAD src0_sel:BYTE_0 src1_sel:DWORD
	v_cmp_ne_u32_e32 vcc, 16, v41
	v_or_b32_sdwa v25, v25, v26 dst_sel:DWORD dst_unused:UNUSED_PAD src0_sel:WORD_0 src1_sel:DWORD
	;; [unrolled: 16-line block ×5, first 2 shown]
	v_cndmask_b32_e32 v45, 21, v19, vcc
	v_lshrrev_b32_e32 v46, 8, v19
	v_cmp_ne_u32_e32 vcc, 5, v41
	v_cndmask_b32_e32 v46, 21, v46, vcc
	v_lshlrev_b16_e32 v46, 8, v46
	v_or_b32_sdwa v45, v45, v46 dst_sel:DWORD dst_unused:UNUSED_PAD src0_sel:BYTE_0 src1_sel:DWORD
	v_lshrrev_b32_e32 v46, 24, v19
	v_cmp_ne_u32_e32 vcc, 7, v41
	v_cndmask_b32_e32 v46, 21, v46, vcc
	v_lshrrev_b32_e32 v47, 16, v19
	v_cmp_ne_u32_e32 vcc, 6, v41
	v_lshlrev_b16_e32 v46, 8, v46
	v_cndmask_b32_e32 v41, 21, v47, vcc
	v_and_b32_e32 v42, 0x200000, v28
	v_or_b32_sdwa v41, v41, v46 dst_sel:WORD_1 dst_unused:UNUSED_PAD src0_sel:BYTE_0 src1_sel:DWORD
	v_or_b32_sdwa v41, v45, v41 dst_sel:DWORD dst_unused:UNUSED_PAD src0_sel:WORD_0 src1_sel:DWORD
	v_cmp_eq_u32_e32 vcc, 0, v42
	v_cndmask_b32_e32 v18, v24, v18, vcc
	v_cndmask_b32_e32 v19, v41, v19, vcc
	;; [unrolled: 1-line block ×6, first 2 shown]
	v_cmp_ne_u32_e32 vcc, 0, v35
	v_cndmask_b32_e32 v24, 22, v18, vcc
	v_lshrrev_b32_e32 v25, 8, v18
	v_cmp_ne_u32_e32 vcc, 1, v35
	v_cndmask_b32_e32 v25, 22, v25, vcc
	v_lshlrev_b16_e32 v25, 8, v25
	v_or_b32_sdwa v24, v24, v25 dst_sel:DWORD dst_unused:UNUSED_PAD src0_sel:BYTE_0 src1_sel:DWORD
	v_lshrrev_b32_e32 v25, 24, v18
	v_cmp_ne_u32_e32 vcc, 3, v35
	v_cndmask_b32_e32 v25, 22, v25, vcc
	v_lshrrev_b32_e32 v26, 16, v18
	v_cmp_ne_u32_e32 vcc, 2, v35
	v_lshlrev_b16_e32 v25, 8, v25
	v_cndmask_b32_e32 v26, 22, v26, vcc
	v_or_b32_sdwa v25, v26, v25 dst_sel:WORD_1 dst_unused:UNUSED_PAD src0_sel:BYTE_0 src1_sel:DWORD
	v_cmp_ne_u32_e32 vcc, 20, v35
	v_or_b32_sdwa v24, v24, v25 dst_sel:DWORD dst_unused:UNUSED_PAD src0_sel:WORD_0 src1_sel:DWORD
	v_cndmask_b32_e32 v25, 22, v23, vcc
	v_lshrrev_b32_e32 v26, 8, v23
	v_cmp_ne_u32_e32 vcc, 21, v35
	v_cndmask_b32_e32 v26, 22, v26, vcc
	v_lshlrev_b16_e32 v26, 8, v26
	v_or_b32_sdwa v25, v25, v26 dst_sel:DWORD dst_unused:UNUSED_PAD src0_sel:BYTE_0 src1_sel:DWORD
	v_lshrrev_b32_e32 v26, 24, v23
	v_cmp_ne_u32_e32 vcc, 23, v35
	v_cndmask_b32_e32 v26, 22, v26, vcc
	v_lshrrev_b32_e32 v41, 16, v23
	v_cmp_ne_u32_e32 vcc, 22, v35
	v_lshlrev_b16_e32 v26, 8, v26
	v_cndmask_b32_e32 v41, 22, v41, vcc
	v_or_b32_sdwa v26, v41, v26 dst_sel:WORD_1 dst_unused:UNUSED_PAD src0_sel:BYTE_0 src1_sel:DWORD
	v_cmp_ne_u32_e32 vcc, 16, v35
	v_or_b32_sdwa v25, v25, v26 dst_sel:DWORD dst_unused:UNUSED_PAD src0_sel:WORD_0 src1_sel:DWORD
	;; [unrolled: 16-line block ×5, first 2 shown]
	v_cndmask_b32_e32 v43, 22, v19, vcc
	v_lshrrev_b32_e32 v44, 8, v19
	v_cmp_ne_u32_e32 vcc, 5, v35
	v_cndmask_b32_e32 v44, 22, v44, vcc
	v_lshlrev_b16_e32 v44, 8, v44
	v_or_b32_sdwa v43, v43, v44 dst_sel:DWORD dst_unused:UNUSED_PAD src0_sel:BYTE_0 src1_sel:DWORD
	v_lshrrev_b32_e32 v44, 24, v19
	v_cmp_ne_u32_e32 vcc, 7, v35
	v_cndmask_b32_e32 v44, 22, v44, vcc
	v_lshrrev_b32_e32 v45, 16, v19
	v_cmp_ne_u32_e32 vcc, 6, v35
	v_lshlrev_b16_e32 v44, 8, v44
	v_cndmask_b32_e32 v35, 22, v45, vcc
	v_and_b32_e32 v36, 0x400000, v28
	v_or_b32_sdwa v35, v35, v44 dst_sel:WORD_1 dst_unused:UNUSED_PAD src0_sel:BYTE_0 src1_sel:DWORD
	v_or_b32_sdwa v35, v43, v35 dst_sel:DWORD dst_unused:UNUSED_PAD src0_sel:WORD_0 src1_sel:DWORD
	v_cmp_eq_u32_e32 vcc, 0, v36
	v_cndmask_b32_e32 v18, v24, v18, vcc
	v_cndmask_b32_e32 v24, v35, v19, vcc
	;; [unrolled: 1-line block ×6, first 2 shown]
	v_cmp_ne_u32_e32 vcc, 0, v27
	v_cndmask_b32_e32 v19, 23, v18, vcc
	v_lshrrev_b32_e32 v20, 8, v18
	v_cmp_ne_u32_e32 vcc, 1, v27
	v_cndmask_b32_e32 v20, 23, v20, vcc
	v_lshlrev_b16_e32 v20, 8, v20
	v_or_b32_sdwa v19, v19, v20 dst_sel:DWORD dst_unused:UNUSED_PAD src0_sel:BYTE_0 src1_sel:DWORD
	v_lshrrev_b32_e32 v20, 24, v18
	v_cmp_ne_u32_e32 vcc, 3, v27
	v_cndmask_b32_e32 v20, 23, v20, vcc
	v_lshrrev_b32_e32 v21, 16, v18
	v_cmp_ne_u32_e32 vcc, 2, v27
	v_lshlrev_b16_e32 v20, 8, v20
	v_cndmask_b32_e32 v21, 23, v21, vcc
	v_or_b32_sdwa v20, v21, v20 dst_sel:WORD_1 dst_unused:UNUSED_PAD src0_sel:BYTE_0 src1_sel:DWORD
	v_cmp_ne_u32_e32 vcc, 20, v27
	v_or_b32_sdwa v19, v19, v20 dst_sel:DWORD dst_unused:UNUSED_PAD src0_sel:WORD_0 src1_sel:DWORD
	v_cndmask_b32_e32 v20, 23, v41, vcc
	v_lshrrev_b32_e32 v21, 8, v41
	v_cmp_ne_u32_e32 vcc, 21, v27
	v_cndmask_b32_e32 v21, 23, v21, vcc
	v_lshlrev_b16_e32 v21, 8, v21
	v_or_b32_sdwa v20, v20, v21 dst_sel:DWORD dst_unused:UNUSED_PAD src0_sel:BYTE_0 src1_sel:DWORD
	v_lshrrev_b32_e32 v21, 24, v41
	v_cmp_ne_u32_e32 vcc, 23, v27
	v_cndmask_b32_e32 v21, 23, v21, vcc
	v_lshrrev_b32_e32 v22, 16, v41
	v_cmp_ne_u32_e32 vcc, 22, v27
	v_lshlrev_b16_e32 v21, 8, v21
	v_cndmask_b32_e32 v22, 23, v22, vcc
	v_or_b32_sdwa v21, v22, v21 dst_sel:WORD_1 dst_unused:UNUSED_PAD src0_sel:BYTE_0 src1_sel:DWORD
	v_cmp_ne_u32_e32 vcc, 16, v27
	v_or_b32_sdwa v42, v20, v21 dst_sel:DWORD dst_unused:UNUSED_PAD src0_sel:WORD_0 src1_sel:DWORD
	;; [unrolled: 16-line block ×5, first 2 shown]
	v_cndmask_b32_e32 v20, 23, v24, vcc
	v_lshrrev_b32_e32 v21, 8, v24
	v_cmp_ne_u32_e32 vcc, 5, v27
	v_cndmask_b32_e32 v21, 23, v21, vcc
	v_lshlrev_b16_e32 v21, 8, v21
	v_or_b32_sdwa v20, v20, v21 dst_sel:DWORD dst_unused:UNUSED_PAD src0_sel:BYTE_0 src1_sel:DWORD
	v_lshrrev_b32_e32 v21, 24, v24
	v_cmp_ne_u32_e32 vcc, 7, v27
	v_cndmask_b32_e32 v21, 23, v21, vcc
	v_lshrrev_b32_e32 v22, 16, v24
	v_cmp_ne_u32_e32 vcc, 6, v27
	v_lshlrev_b16_e32 v21, 8, v21
	v_cndmask_b32_e32 v22, 23, v22, vcc
	v_and_b32_e32 v28, 0x800000, v28
	v_or_b32_sdwa v21, v22, v21 dst_sel:WORD_1 dst_unused:UNUSED_PAD src0_sel:BYTE_0 src1_sel:DWORD
	v_or_b32_sdwa v20, v20, v21 dst_sel:DWORD dst_unused:UNUSED_PAD src0_sel:WORD_0 src1_sel:DWORD
	v_cmp_eq_u32_e32 vcc, 0, v28
	v_cndmask_b32_e32 v19, v19, v18, vcc
	v_cndmask_b32_e32 v20, v20, v24, vcc
	v_lshrrev_b64 v[21:22], 24, v[19:20]
	v_cndmask_b32_e32 v22, v25, v35, vcc
	v_cndmask_b32_e32 v23, v23, v36, vcc
	v_lshrrev_b64 v[24:25], 24, v[22:23]
	;; [unrolled: 3-line block ×3, first 2 shown]
	s_mov_b32 s10, 0
	s_mov_b32 s12, 0x55555555
	v_lshrrev_b32_e32 v63, 8, v19
	v_lshrrev_b32_e32 v28, 24, v20
	;; [unrolled: 1-line block ×12, first 2 shown]
	v_mov_b32_e32 v18, 0
	s_mov_b64 s[8:9], 0
	s_mov_b32 s11, 0x3fd00000
	s_mov_b32 s13, 0x3fd55555
	v_mov_b32_e32 v74, 0xd0
	v_mov_b32_e32 v75, 3
	s_mov_b64 s[14:15], 0
	s_branch .LBB0_321
.LBB0_319:                              ;   in Loop: Header=BB0_321 Depth=1
	s_or_b64 exec, exec, s[18:19]
	v_mov_b32_e32 v79, v76
	v_mov_b32_e32 v76, v78
.LBB0_320:                              ;   in Loop: Header=BB0_321 Depth=1
	s_or_b64 exec, exec, s[16:17]
	v_lshl_add_u32 v88, v76, 3, v74
	buffer_load_dword v77, v88, s[0:3], 0 offen offset:68
	buffer_load_dword v78, v88, s[0:3], 0 offen offset:128
	;; [unrolled: 1-line block ×3, first 2 shown]
	v_lshl_add_u32 v89, v79, 3, v74
	buffer_load_dword v80, v88, s[0:3], 0 offen
	buffer_load_dword v83, v89, s[0:3], 0 offen offset:68
	buffer_load_dword v84, v89, s[0:3], 0 offen offset:128
	;; [unrolled: 1-line block ×4, first 2 shown]
	buffer_load_dword v86, v89, s[0:3], 0 offen
	buffer_load_dword v87, v89, s[0:3], 0 offen offset:4
	buffer_load_dword v85, v89, s[0:3], 0 offen offset:132
	;; [unrolled: 1-line block ×3, first 2 shown]
	s_waitcnt vmcnt(32)
	v_add_f64 v[41:42], v[41:42], v[45:46]
	s_waitcnt vmcnt(24)
	v_add_f64 v[45:46], v[47:48], v[49:50]
	;; [unrolled: 2-line block ×3, first 2 shown]
	s_add_u32 s14, s14, 1
	s_addc_u32 s15, s15, 0
	v_cmp_eq_u64_e32 vcc, s[14:15], v[17:18]
	s_or_b64 s[8:9], vcc, s[8:9]
	v_add_f64 v[41:42], v[41:42], v[43:44]
	s_waitcnt vmcnt(18)
	v_add_f64 v[43:44], v[45:46], v[57:58]
	s_waitcnt vmcnt(12)
	v_add_f64 v[45:46], v[47:48], v[61:62]
	v_add_f64 v[35:36], v[41:42], v[35:36]
	;; [unrolled: 1-line block ×4, first 2 shown]
	v_fma_f64 v[45:46], v[35:36], s[10:11], -v[1:2]
	v_fma_f64 v[41:42], v[41:42], s[10:11], -v[5:6]
	;; [unrolled: 1-line block ×3, first 2 shown]
	v_mul_f64 v[43:44], v[33:34], v[45:46]
	s_waitcnt vmcnt(5)
	v_add_f64 v[45:46], v[82:83], -v[5:6]
	s_waitcnt vmcnt(4)
	v_add_f64 v[49:50], v[80:81], -v[1:2]
	;; [unrolled: 2-line block ×3, first 2 shown]
	v_add_f64 v[47:48], v[76:77], -v[5:6]
	s_waitcnt vmcnt(1)
	v_add_f64 v[53:54], v[84:85], -v[7:8]
	s_waitcnt vmcnt(0)
	v_add_f64 v[55:56], v[78:79], -v[7:8]
	v_mul_f64 v[57:58], v[31:32], v[45:46]
	v_fma_f64 v[59:60], -v[33:34], v[49:50], v[43:44]
	v_fma_f64 v[84:85], v[33:34], v[49:50], v[43:44]
	v_mul_f64 v[76:77], v[33:34], v[51:52]
	v_mul_f64 v[47:48], v[31:32], v[47:48]
	v_add_f64 v[78:79], v[35:36], v[53:54]
	v_fma_f64 v[80:81], v[33:34], v[51:52], v[43:44]
	v_add_f64 v[82:83], v[35:36], v[55:56]
	v_fma_f64 v[51:52], v[33:34], v[51:52], -v[43:44]
	v_fma_f64 v[86:87], v[31:32], v[41:42], v[57:58]
	v_add_f64 v[88:89], v[53:54], v[55:56]
	v_fma_f64 v[94:95], v[33:34], v[49:50], -v[76:77]
	v_fma_f64 v[61:62], v[31:32], v[41:42], v[47:48]
	v_mul_f64 v[90:91], v[78:79], 0.5
	v_fma_f64 v[80:81], v[37:38], v[80:81], v[1:2]
	v_mul_f64 v[92:93], v[82:83], 0.5
	v_fma_f64 v[45:46], v[31:32], v[45:46], v[47:48]
	v_fma_f64 v[78:79], v[78:79], 0.5, 0
	v_mul_f64 v[96:97], v[88:89], 0.5
	v_fma_f64 v[98:99], v[33:34], v[49:50], v[76:77]
	v_mul_f64 v[59:60], v[59:60], v[61:62]
	v_fma_f64 v[61:62], v[39:40], v[61:62], v[5:6]
	v_fma_f64 v[80:81], v[80:81], v[90:91], 0
	v_mul_f64 v[49:50], v[33:34], v[49:50]
	ds_write2_b64 v0, v[57:58], v[47:48] offset0:10 offset1:12
	v_fma_f64 v[78:79], v[82:83], 0.5, v[78:79]
	ds_write2_b64 v0, v[53:54], v[55:56] offset0:20 offset1:22
	v_fma_f64 v[82:83], v[37:38], v[98:99], v[1:2]
	v_fma_f64 v[51:52], v[51:52], v[86:87], v[59:60]
	;; [unrolled: 1-line block ×4, first 2 shown]
	v_fma_f64 v[86:87], v[90:91], 0.5, v[7:8]
	ds_write2_b64 v0, v[76:77], v[49:50] offset1:2
	v_fma_f64 v[78:79], v[88:89], 0.5, v[78:79]
	v_fma_f64 v[51:52], v[94:95], v[45:46], v[51:52]
	v_fma_f64 v[94:95], v[92:93], 0.5, v[7:8]
	v_fma_f64 v[84:85], v[84:85], v[90:91], 0
	v_fma_f64 v[86:87], v[90:91], v[86:87], 0
	;; [unrolled: 1-line block ×3, first 2 shown]
	v_fma_f64 v[90:91], v[96:97], 0.5, v[7:8]
	v_fma_f64 v[59:60], v[59:60], v[92:93], v[80:81]
	v_mul_f64 v[51:52], v[51:52], 0.5
	v_fma_f64 v[61:62], v[61:62], v[92:93], v[84:85]
	v_fma_f64 v[80:81], v[92:93], v[94:95], v[86:87]
	v_fma_f64 v[59:60], v[82:83], v[96:97], v[59:60]
	v_mul_f64 v[51:52], v[51:52], s[12:13]
	v_fma_f64 v[45:46], v[45:46], v[96:97], v[61:62]
	v_fma_f64 v[61:62], v[96:97], v[90:91], v[80:81]
	;; [unrolled: 1-line block ×10, first 2 shown]
	s_andn2_b64 exec, exec, s[8:9]
	s_cbranch_execz .LBB0_346
.LBB0_321:                              ; =>This Inner Loop Header: Depth=1
	s_cmp_eq_u32 s14, 1
	s_cselect_b64 vcc, -1, 0
	s_cmp_eq_u32 s14, 2
	v_cndmask_b32_e32 v35, v19, v63, vcc
	s_cselect_b64 vcc, -1, 0
	s_cmp_eq_u32 s14, 3
	v_cndmask_b32_sdwa v35, v35, v19, vcc dst_sel:DWORD dst_unused:UNUSED_PAD src0_sel:DWORD src1_sel:WORD_1
	s_cselect_b64 vcc, -1, 0
	s_cmp_eq_u32 s14, 4
	v_cndmask_b32_e32 v35, v35, v21, vcc
	s_cselect_b64 vcc, -1, 0
	s_cmp_eq_u32 s14, 5
	v_cndmask_b32_e32 v35, v35, v20, vcc
	s_cselect_b64 vcc, -1, 0
	s_cmp_eq_u32 s14, 6
	v_cndmask_b32_e32 v35, v35, v65, vcc
	s_cselect_b64 vcc, -1, 0
	s_cmp_eq_u32 s14, 7
	v_cndmask_b32_e32 v35, v35, v64, vcc
	s_cselect_b64 vcc, -1, 0
	s_cmp_eq_u32 s14, 8
	v_cndmask_b32_e32 v35, v35, v28, vcc
	s_cselect_b64 vcc, -1, 0
	s_cmp_eq_u32 s14, 9
	v_cndmask_b32_e32 v35, v35, v22, vcc
	s_cselect_b64 vcc, -1, 0
	s_cmp_eq_u32 s14, 10
	v_cndmask_b32_e32 v35, v35, v67, vcc
	s_cselect_b64 vcc, -1, 0
	s_cmp_eq_u32 s14, 11
	v_cndmask_b32_e32 v35, v35, v66, vcc
	s_cselect_b64 vcc, -1, 0
	s_cmp_eq_u32 s14, 12
	v_cndmask_b32_e32 v35, v35, v24, vcc
	s_cselect_b64 vcc, -1, 0
	s_cmp_eq_u32 s14, 13
	v_cndmask_b32_e32 v35, v35, v23, vcc
	s_cselect_b64 vcc, -1, 0
	s_cmp_eq_u32 s14, 14
	v_cndmask_b32_e32 v35, v35, v70, vcc
	s_cselect_b64 vcc, -1, 0
	s_cmp_eq_u32 s14, 15
	v_cndmask_b32_e32 v35, v35, v69, vcc
	s_cselect_b64 vcc, -1, 0
	s_cmp_eq_u32 s14, 16
	v_cndmask_b32_e32 v35, v35, v68, vcc
	s_cselect_b64 vcc, -1, 0
	s_cmp_eq_u32 s14, 17
	v_cndmask_b32_e32 v35, v35, v25, vcc
	s_cselect_b64 vcc, -1, 0
	s_cmp_eq_u32 s14, 18
	v_cndmask_b32_e32 v35, v35, v72, vcc
	s_cselect_b64 vcc, -1, 0
	s_cmp_eq_u32 s14, 19
	v_cndmask_b32_e32 v35, v35, v71, vcc
	s_cselect_b64 vcc, -1, 0
	s_cmp_eq_u32 s14, 20
	v_cndmask_b32_e32 v35, v35, v27, vcc
	s_cselect_b64 vcc, -1, 0
	s_cmp_eq_u32 s14, 21
	v_cndmask_b32_e32 v35, v35, v26, vcc
	s_cselect_b64 vcc, -1, 0
	s_cmp_eq_u32 s14, 22
	v_cndmask_b32_e32 v35, v35, v73, vcc
	s_cselect_b64 vcc, -1, 0
	s_cmp_eq_u32 s14, 23
	v_cndmask_b32_sdwa v35, v35, v26, vcc dst_sel:DWORD dst_unused:UNUSED_PAD src0_sel:DWORD src1_sel:WORD_1
	s_cselect_b64 vcc, -1, 0
	v_cndmask_b32_sdwa v79, v35, v26, vcc dst_sel:DWORD dst_unused:UNUSED_PAD src0_sel:DWORD src1_sel:BYTE_3
	v_bfe_u32 v76, v79, 2, 6
	v_cmp_lt_i32_e32 vcc, 1, v76
                                        ; implicit-def: $vgpr80
                                        ; implicit-def: $vgpr47
                                        ; implicit-def: $vgpr77
                                        ; implicit-def: $vgpr48
                                        ; implicit-def: $vgpr78
                                        ; implicit-def: $vgpr49
                                        ; implicit-def: $vgpr50
	s_and_saveexec_b64 s[16:17], vcc
	s_xor_b64 s[16:17], exec, s[16:17]
	s_cbranch_execz .LBB0_333
; %bb.322:                              ;   in Loop: Header=BB0_321 Depth=1
	v_cmp_lt_i32_e32 vcc, 2, v76
                                        ; implicit-def: $vgpr80
                                        ; implicit-def: $vgpr47
                                        ; implicit-def: $vgpr77
                                        ; implicit-def: $vgpr48
                                        ; implicit-def: $vgpr78
                                        ; implicit-def: $vgpr49
                                        ; implicit-def: $vgpr50
	s_and_saveexec_b64 s[18:19], vcc
	s_xor_b64 s[18:19], exec, s[18:19]
	s_cbranch_execz .LBB0_330
; %bb.323:                              ;   in Loop: Header=BB0_321 Depth=1
	;; [unrolled: 12-line block ×3, first 2 shown]
	v_cmp_ne_u32_e32 vcc, 4, v76
	s_and_saveexec_b64 s[22:23], vcc
	s_xor_b64 s[22:23], exec, s[22:23]
	s_or_saveexec_b64 s[22:23], s[22:23]
	v_mov_b32_e32 v76, 4
	v_mov_b32_e32 v78, 6
	;; [unrolled: 1-line block ×8, first 2 shown]
	s_xor_b64 exec, exec, s[22:23]
; %bb.325:                              ;   in Loop: Header=BB0_321 Depth=1
	v_mov_b32_e32 v76, 0
	v_mov_b32_e32 v78, 1
	;; [unrolled: 1-line block ×8, first 2 shown]
; %bb.326:                              ;   in Loop: Header=BB0_321 Depth=1
	s_or_b64 exec, exec, s[22:23]
.LBB0_327:                              ;   in Loop: Header=BB0_321 Depth=1
	s_andn2_saveexec_b64 s[20:21], s[20:21]
; %bb.328:                              ;   in Loop: Header=BB0_321 Depth=1
	v_mov_b32_e32 v76, 2
	v_mov_b32_e32 v78, 3
	;; [unrolled: 1-line block ×8, first 2 shown]
; %bb.329:                              ;   in Loop: Header=BB0_321 Depth=1
	s_or_b64 exec, exec, s[20:21]
.LBB0_330:                              ;   in Loop: Header=BB0_321 Depth=1
	s_andn2_saveexec_b64 s[18:19], s[18:19]
; %bb.331:                              ;   in Loop: Header=BB0_321 Depth=1
	v_mov_b32_e32 v76, 0
	v_mov_b32_e32 v78, 4
	;; [unrolled: 1-line block ×8, first 2 shown]
; %bb.332:                              ;   in Loop: Header=BB0_321 Depth=1
	s_or_b64 exec, exec, s[18:19]
.LBB0_333:                              ;   in Loop: Header=BB0_321 Depth=1
	s_andn2_saveexec_b64 s[16:17], s[16:17]
	s_cbranch_execz .LBB0_337
; %bb.334:                              ;   in Loop: Header=BB0_321 Depth=1
	v_cmp_lt_i32_e32 vcc, 0, v76
	v_mov_b32_e32 v78, 2
	v_mov_b32_e32 v77, 6
	;; [unrolled: 1-line block ×7, first 2 shown]
	s_and_saveexec_b64 s[18:19], vcc
; %bb.335:                              ;   in Loop: Header=BB0_321 Depth=1
	v_mov_b32_e32 v76, 1
	v_mov_b32_e32 v78, 5
	;; [unrolled: 1-line block ×8, first 2 shown]
; %bb.336:                              ;   in Loop: Header=BB0_321 Depth=1
	s_or_b64 exec, exec, s[18:19]
.LBB0_337:                              ;   in Loop: Header=BB0_321 Depth=1
	s_or_b64 exec, exec, s[16:17]
	v_lshl_add_u32 v61, v76, 3, v74
	buffer_load_dword v41, v50, s[0:3], 0 offen
	buffer_load_dword v42, v50, s[0:3], 0 offen offset:4
	buffer_load_dword v45, v49, s[0:3], 0 offen
	buffer_load_dword v46, v49, s[0:3], 0 offen offset:4
	;; [unrolled: 2-line block ×4, first 2 shown]
	v_lshl_add_u32 v81, v78, 3, v74
	v_lshl_add_u32 v82, v77, 3, v74
	;; [unrolled: 1-line block ×3, first 2 shown]
	buffer_load_dword v47, v61, s[0:3], 0 offen offset:64
	buffer_load_dword v48, v61, s[0:3], 0 offen offset:68
	;; [unrolled: 1-line block ×15, first 2 shown]
                                        ; kill: killed $vgpr83
                                        ; kill: killed $vgpr61
                                        ; kill: killed $vgpr81
	buffer_load_dword v61, v82, s[0:3], 0 offen offset:128
	v_and_b32_sdwa v81, v79, v75 dst_sel:DWORD dst_unused:UNUSED_PAD src0_sel:BYTE_0 src1_sel:DWORD
	v_cmp_lt_i32_e32 vcc, 1, v81
                                        ; implicit-def: $vgpr79
	s_and_saveexec_b64 s[16:17], vcc
	s_xor_b64 s[16:17], exec, s[16:17]
	s_cbranch_execz .LBB0_343
; %bb.338:                              ;   in Loop: Header=BB0_321 Depth=1
	v_cmp_lt_i32_e32 vcc, 2, v81
	s_and_saveexec_b64 s[18:19], vcc
	s_xor_b64 s[18:19], exec, s[18:19]
; %bb.339:                              ;   in Loop: Header=BB0_321 Depth=1
                                        ; implicit-def: $vgpr77
; %bb.340:                              ;   in Loop: Header=BB0_321 Depth=1
	s_or_saveexec_b64 s[18:19], s[18:19]
	v_mov_b32_e32 v79, v80
	s_xor_b64 exec, exec, s[18:19]
; %bb.341:                              ;   in Loop: Header=BB0_321 Depth=1
	v_mov_b32_e32 v79, v77
	v_mov_b32_e32 v76, v80
; %bb.342:                              ;   in Loop: Header=BB0_321 Depth=1
	s_or_b64 exec, exec, s[18:19]
                                        ; implicit-def: $vgpr78
                                        ; implicit-def: $vgpr77
                                        ; implicit-def: $vgpr81
.LBB0_343:                              ;   in Loop: Header=BB0_321 Depth=1
	s_andn2_saveexec_b64 s[16:17], s[16:17]
	s_cbranch_execz .LBB0_320
; %bb.344:                              ;   in Loop: Header=BB0_321 Depth=1
	v_cmp_eq_u32_e32 vcc, 1, v81
	s_and_saveexec_b64 s[18:19], vcc
	s_cbranch_execz .LBB0_319
; %bb.345:                              ;   in Loop: Header=BB0_321 Depth=1
	v_mov_b32_e32 v76, v78
	v_mov_b32_e32 v78, v77
	s_branch .LBB0_319
.LBB0_346:
	s_or_b64 exec, exec, s[8:9]
	v_mul_f64 v[1:2], v[31:32], v[41:42]
	ds_write2_b64 v0, v[43:44], v[1:2] offset0:1 offset1:11
	ds_write_b64 v0, v[35:36] offset:168
.LBB0_347:
	s_or_b64 exec, exec, s[6:7]
	s_load_dwordx2 s[4:5], s[4:5], 0x40
	v_lshlrev_b64 v[0:1], 5, v[29:30]
	s_waitcnt lgkmcnt(0)
	v_mov_b32_e32 v2, s5
	v_add_co_u32_e32 v0, vcc, s4, v0
	v_addc_co_u32_e32 v1, vcc, v2, v1, vcc
	global_store_dwordx4 v[0:1], v[9:12], off
	global_store_dwordx4 v[0:1], v[13:16], off offset:16
.LBB0_348:
	s_endpgm
	.section	.rodata,"a",@progbits
	.p2align	6, 0x0
	.amdhsa_kernel _ZN8rajaperf4apps17intsc_hexrect_hipILm64EEEvPdS2_S2_PiPcS3_S3_lS2_
		.amdhsa_group_segment_fixed_size 15872
		.amdhsa_private_segment_fixed_size 416
		.amdhsa_kernarg_size 72
		.amdhsa_user_sgpr_count 6
		.amdhsa_user_sgpr_private_segment_buffer 1
		.amdhsa_user_sgpr_dispatch_ptr 0
		.amdhsa_user_sgpr_queue_ptr 0
		.amdhsa_user_sgpr_kernarg_segment_ptr 1
		.amdhsa_user_sgpr_dispatch_id 0
		.amdhsa_user_sgpr_flat_scratch_init 0
		.amdhsa_user_sgpr_private_segment_size 0
		.amdhsa_uses_dynamic_stack 0
		.amdhsa_system_sgpr_private_segment_wavefront_offset 1
		.amdhsa_system_sgpr_workgroup_id_x 1
		.amdhsa_system_sgpr_workgroup_id_y 0
		.amdhsa_system_sgpr_workgroup_id_z 0
		.amdhsa_system_sgpr_workgroup_info 0
		.amdhsa_system_vgpr_workitem_id 0
		.amdhsa_next_free_vgpr 131
		.amdhsa_next_free_sgpr 98
		.amdhsa_reserve_vcc 1
		.amdhsa_reserve_flat_scratch 0
		.amdhsa_float_round_mode_32 0
		.amdhsa_float_round_mode_16_64 0
		.amdhsa_float_denorm_mode_32 3
		.amdhsa_float_denorm_mode_16_64 3
		.amdhsa_dx10_clamp 1
		.amdhsa_ieee_mode 1
		.amdhsa_fp16_overflow 0
		.amdhsa_exception_fp_ieee_invalid_op 0
		.amdhsa_exception_fp_denorm_src 0
		.amdhsa_exception_fp_ieee_div_zero 0
		.amdhsa_exception_fp_ieee_overflow 0
		.amdhsa_exception_fp_ieee_underflow 0
		.amdhsa_exception_fp_ieee_inexact 0
		.amdhsa_exception_int_div_zero 0
	.end_amdhsa_kernel
	.section	.text._ZN8rajaperf4apps17intsc_hexrect_hipILm64EEEvPdS2_S2_PiPcS3_S3_lS2_,"axG",@progbits,_ZN8rajaperf4apps17intsc_hexrect_hipILm64EEEvPdS2_S2_PiPcS3_S3_lS2_,comdat
.Lfunc_end0:
	.size	_ZN8rajaperf4apps17intsc_hexrect_hipILm64EEEvPdS2_S2_PiPcS3_S3_lS2_, .Lfunc_end0-_ZN8rajaperf4apps17intsc_hexrect_hipILm64EEEvPdS2_S2_PiPcS3_S3_lS2_
                                        ; -- End function
	.set _ZN8rajaperf4apps17intsc_hexrect_hipILm64EEEvPdS2_S2_PiPcS3_S3_lS2_.num_vgpr, 131
	.set _ZN8rajaperf4apps17intsc_hexrect_hipILm64EEEvPdS2_S2_PiPcS3_S3_lS2_.num_agpr, 0
	.set _ZN8rajaperf4apps17intsc_hexrect_hipILm64EEEvPdS2_S2_PiPcS3_S3_lS2_.numbered_sgpr, 40
	.set _ZN8rajaperf4apps17intsc_hexrect_hipILm64EEEvPdS2_S2_PiPcS3_S3_lS2_.num_named_barrier, 0
	.set _ZN8rajaperf4apps17intsc_hexrect_hipILm64EEEvPdS2_S2_PiPcS3_S3_lS2_.private_seg_size, 416
	.set _ZN8rajaperf4apps17intsc_hexrect_hipILm64EEEvPdS2_S2_PiPcS3_S3_lS2_.uses_vcc, 1
	.set _ZN8rajaperf4apps17intsc_hexrect_hipILm64EEEvPdS2_S2_PiPcS3_S3_lS2_.uses_flat_scratch, 0
	.set _ZN8rajaperf4apps17intsc_hexrect_hipILm64EEEvPdS2_S2_PiPcS3_S3_lS2_.has_dyn_sized_stack, 0
	.set _ZN8rajaperf4apps17intsc_hexrect_hipILm64EEEvPdS2_S2_PiPcS3_S3_lS2_.has_recursion, 0
	.set _ZN8rajaperf4apps17intsc_hexrect_hipILm64EEEvPdS2_S2_PiPcS3_S3_lS2_.has_indirect_call, 0
	.section	.AMDGPU.csdata,"",@progbits
; Kernel info:
; codeLenInByte = 55508
; TotalNumSgprs: 44
; NumVgprs: 131
; ScratchSize: 416
; MemoryBound: 0
; FloatMode: 240
; IeeeMode: 1
; LDSByteSize: 15872 bytes/workgroup (compile time only)
; SGPRBlocks: 12
; VGPRBlocks: 32
; NumSGPRsForWavesPerEU: 102
; NumVGPRsForWavesPerEU: 131
; Occupancy: 1
; WaveLimiterHint : 1
; COMPUTE_PGM_RSRC2:SCRATCH_EN: 1
; COMPUTE_PGM_RSRC2:USER_SGPR: 6
; COMPUTE_PGM_RSRC2:TRAP_HANDLER: 0
; COMPUTE_PGM_RSRC2:TGID_X_EN: 1
; COMPUTE_PGM_RSRC2:TGID_Y_EN: 0
; COMPUTE_PGM_RSRC2:TGID_Z_EN: 0
; COMPUTE_PGM_RSRC2:TIDIG_COMP_CNT: 0
	.section	.text._ZN8rajaperf17lambda_hip_forallILm64EZNS_4apps13INTSC_HEXRECT17runHipVariantImplILm64EEEvNS_9VariantIDEEUllE_EEvllT0_,"axG",@progbits,_ZN8rajaperf17lambda_hip_forallILm64EZNS_4apps13INTSC_HEXRECT17runHipVariantImplILm64EEEvNS_9VariantIDEEUllE_EEvllT0_,comdat
	.protected	_ZN8rajaperf17lambda_hip_forallILm64EZNS_4apps13INTSC_HEXRECT17runHipVariantImplILm64EEEvNS_9VariantIDEEUllE_EEvllT0_ ; -- Begin function _ZN8rajaperf17lambda_hip_forallILm64EZNS_4apps13INTSC_HEXRECT17runHipVariantImplILm64EEEvNS_9VariantIDEEUllE_EEvllT0_
	.globl	_ZN8rajaperf17lambda_hip_forallILm64EZNS_4apps13INTSC_HEXRECT17runHipVariantImplILm64EEEvNS_9VariantIDEEUllE_EEvllT0_
	.p2align	8
	.type	_ZN8rajaperf17lambda_hip_forallILm64EZNS_4apps13INTSC_HEXRECT17runHipVariantImplILm64EEEvNS_9VariantIDEEUllE_EEvllT0_,@function
_ZN8rajaperf17lambda_hip_forallILm64EZNS_4apps13INTSC_HEXRECT17runHipVariantImplILm64EEEvNS_9VariantIDEEUllE_EEvllT0_: ; @_ZN8rajaperf17lambda_hip_forallILm64EZNS_4apps13INTSC_HEXRECT17runHipVariantImplILm64EEEvNS_9VariantIDEEUllE_EEvllT0_
; %bb.0:
	s_load_dwordx4 s[8:11], s[4:5], 0x0
	s_add_u32 s0, s0, s7
	s_mov_b32 s7, 0
	s_addc_u32 s1, s1, 0
	s_lshl_b64 s[6:7], s[6:7], 6
	s_waitcnt lgkmcnt(0)
	s_add_u32 s6, s8, s6
	s_addc_u32 s7, s9, s7
	v_mov_b32_e32 v1, s7
	v_add_co_u32_e32 v28, vcc, s6, v0
	v_addc_co_u32_e32 v29, vcc, 0, v1, vcc
	v_cmp_gt_i64_e32 vcc, s[10:11], v[28:29]
	s_and_saveexec_b64 s[6:7], vcc
	s_cbranch_execz .LBB1_349
; %bb.1:
	s_load_dwordx2 s[6:7], s[4:5], 0x10
	s_waitcnt lgkmcnt(0)
	v_cmp_gt_i64_e32 vcc, s[6:7], v[28:29]
	s_and_b64 exec, exec, vcc
	s_cbranch_execz .LBB1_349
; %bb.2:
	s_load_dwordx16 s[36:51], s[4:5], 0x18
	v_lshlrev_b64 v[8:9], 2, v[28:29]
	s_mov_b32 s20, 0
	s_movk_i32 s30, 0xf8
	s_movk_i32 s31, 0xe8
	s_waitcnt lgkmcnt(0)
	v_mov_b32_e32 v1, s39
	v_add_co_u32_e32 v0, vcc, s38, v8
	v_addc_co_u32_e32 v1, vcc, v1, v9, vcc
	global_load_dword v0, v[0:1], off
	v_mov_b32_e32 v2, s41
	v_mov_b32_e32 v18, s43
	v_mov_b32_e32 v19, s45
	v_mov_b32_e32 v20, s47
	v_mov_b32_e32 v21, s43
	v_mov_b32_e32 v23, s45
	v_mov_b32_e32 v24, s47
	v_mov_b32_e32 v25, s43
	v_mov_b32_e32 v27, s45
	v_mov_b32_e32 v30, s47
	v_mov_b32_e32 v31, s43
	v_mov_b32_e32 v33, s45
	v_mov_b32_e32 v34, s47
	v_mov_b32_e32 v35, s43
	v_mov_b32_e32 v37, s45
	v_mov_b32_e32 v38, s47
	v_mov_b32_e32 v39, s43
	v_mov_b32_e32 v41, s45
	v_mov_b32_e32 v50, s47
	v_mov_b32_e32 v51, s43
	v_mov_b32_e32 v52, s45
	v_mov_b32_e32 v54, s47
	v_mov_b32_e32 v55, s43
	s_or_b32 s33, 0xd0, 8
	s_movk_i32 s34, 0x100
	s_movk_i32 s35, 0xe0
	s_movk_i32 s38, 0xf0
	s_movk_i32 s39, 0x108
	s_mov_b32 s24, 0
	s_mov_b64 s[18:19], 0
	s_mov_b32 s21, 0x3fd00000
	s_waitcnt vmcnt(0)
	v_lshlrev_b32_e32 v0, 3, v0
	v_ashrrev_i32_e32 v1, 31, v0
	v_lshlrev_b64 v[0:1], 2, v[0:1]
	v_add_co_u32_e32 v10, vcc, s40, v0
	v_addc_co_u32_e32 v11, vcc, v2, v1, vcc
	global_load_dwordx4 v[0:3], v[10:11], off
	global_load_dwordx4 v[4:7], v[10:11], off offset:16
	s_load_dwordx2 s[8:9], s[48:49], 0x4
	s_load_dwordx4 s[4:7], s[48:49], 0x10
	v_mov_b32_e32 v10, s51
	v_add_co_u32_e32 v8, vcc, s50, v8
	s_waitcnt lgkmcnt(0)
	s_abs_i32 s10, s9
	v_cvt_f32_u32_e32 v11, s10
	v_addc_co_u32_e32 v9, vcc, v10, v9, vcc
	global_load_dword v56, v[8:9], off
	v_rcp_iflag_f32_e32 v57, v11
	s_sub_i32 s11, 0, s10
	s_abs_i32 s12, s8
	s_mul_i32 s8, s9, s8
	s_waitcnt vmcnt(2)
	v_ashrrev_i32_e32 v9, 31, v0
	v_mov_b32_e32 v8, v0
	v_ashrrev_i32_e32 v11, 31, v1
	v_mov_b32_e32 v10, v1
	;; [unrolled: 2-line block ×4, first 2 shown]
	s_waitcnt vmcnt(1)
	v_ashrrev_i32_e32 v3, 31, v4
	v_mov_b32_e32 v2, v4
	v_ashrrev_i32_e32 v15, 31, v5
	v_mov_b32_e32 v14, v5
	;; [unrolled: 2-line block ×4, first 2 shown]
	v_lshlrev_b64 v[6:7], 3, v[8:9]
	v_lshlrev_b64 v[8:9], 3, v[10:11]
	;; [unrolled: 1-line block ×5, first 2 shown]
	v_add_co_u32_e32 v16, vcc, s42, v6
	v_addc_co_u32_e32 v17, vcc, v18, v7, vcc
	v_add_co_u32_e32 v18, vcc, s44, v6
	v_addc_co_u32_e32 v19, vcc, v19, v7, vcc
	;; [unrolled: 2-line block ×5, first 2 shown]
	v_lshlrev_b64 v[0:1], 3, v[0:1]
	v_add_co_u32_e32 v8, vcc, s46, v8
	v_addc_co_u32_e32 v9, vcc, v24, v9, vcc
	v_add_co_u32_e32 v24, vcc, s42, v0
	v_addc_co_u32_e32 v25, vcc, v25, v1, vcc
	;; [unrolled: 2-line block ×6, first 2 shown]
	v_lshlrev_b64 v[2:3], 3, v[2:3]
	v_add_co_u32_e32 v10, vcc, s46, v10
	v_addc_co_u32_e32 v11, vcc, v34, v11, vcc
	v_add_co_u32_e32 v34, vcc, s42, v2
	v_addc_co_u32_e32 v35, vcc, v35, v3, vcc
	;; [unrolled: 2-line block ×6, first 2 shown]
	v_lshlrev_b64 v[4:5], 3, v[4:5]
	global_load_dwordx2 v[16:17], v[16:17], off
	s_nop 0
	global_load_dwordx2 v[42:43], v[18:19], off
	global_load_dwordx2 v[44:45], v[6:7], off
	global_load_dwordx2 v[46:47], v[20:21], off
	global_load_dwordx2 v[48:49], v[22:23], off
	v_add_co_u32_e32 v6, vcc, s46, v12
	v_addc_co_u32_e32 v7, vcc, v50, v13, vcc
	global_load_dwordx2 v[12:13], v[8:9], off
	global_load_dwordx2 v[18:19], v[24:25], off
	global_load_dwordx2 v[20:21], v[26:27], off
	global_load_dwordx2 v[22:23], v[0:1], off
	v_add_co_u32_e32 v0, vcc, s42, v4
	v_addc_co_u32_e32 v1, vcc, v51, v5, vcc
	global_load_dwordx2 v[8:9], v[30:31], off
	global_load_dwordx2 v[24:25], v[32:33], off
	global_load_dwordx2 v[26:27], v[10:11], off
	global_load_dwordx2 v[50:51], v[34:35], off
	v_add_co_u32_e32 v10, vcc, s44, v4
	v_addc_co_u32_e32 v11, vcc, v52, v5, vcc
	global_load_dwordx2 v[30:31], v[36:37], off
	global_load_dwordx2 v[32:33], v[2:3], off
	global_load_dwordx2 v[34:35], v[38:39], off
	global_load_dwordx2 v[52:53], v[40:41], off
	v_add_co_u32_e32 v2, vcc, s46, v4
	v_addc_co_u32_e32 v3, vcc, v54, v5, vcc
	global_load_dwordx2 v[4:5], v[6:7], off
	global_load_dwordx2 v[36:37], v[0:1], off
	;; [unrolled: 1-line block ×4, first 2 shown]
	v_mul_f32_e32 v2, 0x4f7ffffe, v57
	v_cvt_u32_f32_e32 v10, v2
	v_add_co_u32_e32 v0, vcc, s42, v14
	v_addc_co_u32_e32 v1, vcc, v55, v15, vcc
	v_mul_lo_u32 v2, s11, v10
	v_mov_b32_e32 v3, s45
	v_mov_b32_e32 v7, s47
	global_load_dwordx2 v[0:1], v[0:1], off
	v_mul_hi_u32 v11, v10, v2
	v_add_co_u32_e32 v2, vcc, s44, v14
	v_addc_co_u32_e32 v3, vcc, v3, v15, vcc
	global_load_dwordx2 v[2:3], v[2:3], off
	v_add_co_u32_e32 v6, vcc, s46, v14
	v_addc_co_u32_e32 v7, vcc, v7, v15, vcc
	global_load_dwordx2 v[6:7], v[6:7], off
	v_add_u32_e32 v10, v10, v11
	s_waitcnt vmcnt(24)
	v_sub_u32_e32 v11, 0, v56
	v_max_i32_e32 v54, v56, v11
	v_cvt_f32_u32_e32 v11, s12
	s_waitcnt vmcnt(23)
	buffer_store_dword v17, off, s[0:3], 0 offset:212
	buffer_store_dword v16, off, s[0:3], 0 offset:208
	s_waitcnt vmcnt(24)
	buffer_store_dword v43, off, s[0:3], 0 offset:276
	buffer_store_dword v42, off, s[0:3], 0 offset:272
	;; [unrolled: 3-line block ×22, first 2 shown]
	v_rcp_iflag_f32_e32 v0, v11
	v_mul_hi_u32 v10, v54, v10
	s_sub_i32 s11, 0, s12
	v_xor_b32_e32 v15, s9, v56
	v_mul_f32_e32 v0, 0x4f7ffffe, v0
	v_mul_lo_u32 v14, v10, s10
	v_cvt_u32_f32_e32 v0, v0
	v_add_u32_e32 v55, 1, v10
	v_ashrrev_i32_e32 v15, 31, v15
	v_sub_u32_e32 v14, v54, v14
	v_mul_lo_u32 v8, s11, v0
	v_cmp_le_u32_e32 vcc, s10, v14
	v_subrev_u32_e32 v4, s10, v14
	v_cndmask_b32_e32 v1, v10, v55, vcc
	v_cndmask_b32_e32 v4, v14, v4, vcc
	v_add_u32_e32 v5, 1, v1
	v_cmp_le_u32_e32 vcc, s10, v4
	v_cndmask_b32_e32 v1, v1, v5, vcc
	v_mul_hi_u32 v4, v0, v8
	v_xor_b32_e32 v1, v1, v15
	v_sub_u32_e32 v1, v1, v15
	v_sub_u32_e32 v5, 0, v1
	v_max_i32_e32 v5, v1, v5
	v_add_u32_e32 v0, v0, v4
	v_mul_hi_u32 v0, v5, v0
	s_waitcnt vmcnt(45)
	buffer_store_dword v2, off, s[0:3], 0 offset:328
	buffer_store_dword v3, off, s[0:3], 0 offset:332
	s_waitcnt vmcnt(46)
	buffer_store_dword v6, off, s[0:3], 0 offset:392
	v_ashrrev_i32_e32 v2, 31, v1
	v_mul_lo_u32 v1, v1, s9
	v_mul_lo_u32 v0, v0, s12
	s_load_dwordx2 s[10:11], s[48:49], 0x20
	v_mov_b32_e32 v6, s7
	buffer_store_dword v7, off, s[0:3], 0 offset:396
	v_sub_u32_e32 v0, v5, v0
	v_subrev_u32_e32 v3, s12, v0
	v_cmp_le_u32_e32 vcc, s12, v0
	v_cndmask_b32_e32 v0, v0, v3, vcc
	v_subrev_u32_e32 v3, s12, v0
	v_cmp_le_u32_e32 vcc, s12, v0
	v_cndmask_b32_e32 v0, v0, v3, vcc
	v_xor_b32_e32 v0, v0, v2
	v_sub_u32_e32 v4, v0, v2
	v_sub_u32_e32 v0, v56, v1
	v_ashrrev_i32_e32 v1, 31, v0
	v_lshlrev_b64 v[0:1], 3, v[0:1]
	v_ashrrev_i32_e32 v5, 31, v4
	s_waitcnt lgkmcnt(0)
	v_mov_b32_e32 v2, s11
	v_add_co_u32_e32 v0, vcc, s10, v0
	v_lshlrev_b64 v[4:5], 3, v[4:5]
	v_addc_co_u32_e32 v1, vcc, v2, v1, vcc
	v_add_co_u32_e32 v4, vcc, s6, v4
	v_addc_co_u32_e32 v5, vcc, v6, v5, vcc
	flat_load_dwordx4 v[0:3], v[0:1]
	s_abs_i32 s9, s8
	flat_load_dwordx4 v[4:7], v[4:5]
	v_cvt_f32_u32_e32 v8, s9
	s_sub_i32 s6, 0, s9
	v_xor_b32_e32 v9, s8, v56
	v_ashrrev_i32_e32 v9, 31, v9
	v_rcp_iflag_f32_e32 v8, v8
	v_mov_b32_e32 v38, 8
	v_mov_b32_e32 v39, 0
	v_mul_f32_e32 v8, 0x4f7ffffe, v8
	v_cvt_u32_f32_e32 v8, v8
	s_waitcnt vmcnt(0) lgkmcnt(0)
	v_add_f64 v[10:11], v[2:3], -v[0:1]
	v_mul_lo_u32 v2, s6, v8
	v_add_f64 v[12:13], v[6:7], -v[4:5]
	s_mov_b32 s6, 0x174d6123
	s_mov_b32 s7, 0x2f52f8ac
	v_mul_hi_u32 v6, v8, v2
	v_add_u32_e32 v6, v8, v6
	v_mul_f64 v[2:3], v[10:11], v[12:13]
	v_mul_hi_u32 v6, v54, v6
	v_mov_b32_e32 v8, s5
	v_mul_lo_u32 v7, v6, s9
	v_add_u32_e32 v16, 1, v6
	v_fma_f64 v[14:15], v[2:3], v[2:3], s[6:7]
	v_sub_u32_e32 v7, v54, v7
	v_cmp_le_u32_e32 vcc, s9, v7
	v_cndmask_b32_e32 v6, v6, v16, vcc
	v_subrev_u32_e32 v18, s9, v7
	v_cndmask_b32_e32 v7, v7, v18, vcc
	v_add_u32_e32 v18, 1, v6
	v_cmp_le_u32_e32 vcc, s9, v7
	v_div_scale_f64 v[16:17], s[6:7], v[14:15], v[14:15], v[2:3]
	v_cndmask_b32_e32 v6, v6, v18, vcc
	v_xor_b32_e32 v6, v6, v9
	v_sub_u32_e32 v6, v6, v9
	v_ashrrev_i32_e32 v7, 31, v6
	v_lshlrev_b64 v[6:7], 3, v[6:7]
	v_add_co_u32_e32 v6, vcc, s4, v6
	v_addc_co_u32_e32 v7, vcc, v8, v7, vcc
	flat_load_dwordx4 v[6:9], v[6:7]
	v_rcp_f64_e32 v[18:19], v[16:17]
	v_fma_f64 v[20:21], -v[16:17], v[18:19], 1.0
	v_fma_f64 v[18:19], v[18:19], v[20:21], v[18:19]
	v_div_scale_f64 v[20:21], vcc, v[2:3], v[14:15], v[2:3]
	v_fma_f64 v[22:23], -v[16:17], v[18:19], 1.0
	v_fma_f64 v[18:19], v[18:19], v[22:23], v[18:19]
	v_mul_f64 v[22:23], v[20:21], v[18:19]
	v_fma_f64 v[16:17], -v[16:17], v[22:23], v[20:21]
	v_div_fmas_f64 v[16:17], v[16:17], v[18:19], v[22:23]
	s_waitcnt vmcnt(0) lgkmcnt(0)
	v_add_f64 v[18:19], v[8:9], -v[6:7]
	v_cmp_gt_f64_e32 vcc, v[8:9], v[6:7]
	v_div_fixup_f64 v[8:9], v[16:17], v[14:15], v[2:3]
	v_mov_b32_e32 v14, 0
	buffer_store_dword v14, off, s[0:3], 0 offset:8
	buffer_store_dword v14, off, s[0:3], 0 offset:4
	buffer_store_dword v14, off, s[0:3], 0
	v_cndmask_b32_e32 v35, 0, v19, vcc
	v_cndmask_b32_e32 v34, 0, v18, vcc
	v_mul_f64 v[32:33], v[12:13], v[8:9]
	v_mul_f64 v[30:31], v[10:11], v[8:9]
	s_branch .LBB1_6
.LBB1_3:                                ;   in Loop: Header=BB1_6 Depth=1
	s_or_b64 exec, exec, s[16:17]
.LBB1_4:                                ;   in Loop: Header=BB1_6 Depth=1
	s_or_b64 exec, exec, s[14:15]
	buffer_load_dword v9, v8, s[0:3], 0 offen
	s_waitcnt vmcnt(0)
	v_lshl_or_b32 v9, 8, s24, v9
	buffer_store_dword v9, v8, s[0:3], 0 offen
.LBB1_5:                                ;   in Loop: Header=BB1_6 Depth=1
	s_or_b64 exec, exec, s[22:23]
	s_add_i32 s24, s24, 4
	s_add_u32 s18, s18, 1
	s_addc_u32 s19, s19, 0
	s_cmp_lg_u64 s[18:19], 6
	s_cbranch_scc0 .LBB1_128
.LBB1_6:                                ; =>This Inner Loop Header: Depth=1
	s_cmp_lt_i32 s18, 2
	s_cbranch_scc1 .LBB1_13
; %bb.7:                                ;   in Loop: Header=BB1_6 Depth=1
	s_cmp_gt_i32 s18, 2
	s_cbranch_scc0 .LBB1_14
; %bb.8:                                ;   in Loop: Header=BB1_6 Depth=1
	s_cmp_gt_i32 s18, 3
	s_cbranch_scc0 .LBB1_15
; %bb.9:                                ;   in Loop: Header=BB1_6 Depth=1
	s_cmp_eq_u32 s18, 4
	s_mov_b64 s[4:5], -1
	s_cbranch_scc0 .LBB1_11
; %bb.10:                               ;   in Loop: Header=BB1_6 Depth=1
	s_mov_b64 s[4:5], 0
.LBB1_11:                               ;   in Loop: Header=BB1_6 Depth=1
.LBB1_12:                               ;   in Loop: Header=BB1_6 Depth=1
	s_movk_i32 s14, 0xd0
	s_mov_b32 s11, 0
	s_mov_b32 s10, 1
	;; [unrolled: 1-line block ×7, first 2 shown]
	s_branch .LBB1_17
.LBB1_13:                               ;   in Loop: Header=BB1_6 Depth=1
	s_mov_b64 s[4:5], 0
                                        ; implicit-def: $sgpr8
                                        ; implicit-def: $sgpr12
                                        ; implicit-def: $sgpr9
                                        ; implicit-def: $sgpr13
                                        ; implicit-def: $sgpr10
                                        ; implicit-def: $sgpr15
                                        ; implicit-def: $sgpr11
                                        ; implicit-def: $sgpr14
	s_cbranch_execnz .LBB1_20
	s_branch .LBB1_24
.LBB1_14:                               ;   in Loop: Header=BB1_6 Depth=1
	s_mov_b64 s[4:5], 0
                                        ; implicit-def: $sgpr8
                                        ; implicit-def: $sgpr12
                                        ; implicit-def: $sgpr9
                                        ; implicit-def: $sgpr13
                                        ; implicit-def: $sgpr10
                                        ; implicit-def: $sgpr15
                                        ; implicit-def: $sgpr11
                                        ; implicit-def: $sgpr14
	s_cbranch_execnz .LBB1_18
	s_branch .LBB1_19
.LBB1_15:                               ;   in Loop: Header=BB1_6 Depth=1
	s_mov_b64 s[4:5], 0
	s_cbranch_execz .LBB1_12
; %bb.16:                               ;   in Loop: Header=BB1_6 Depth=1
	s_mov_b32 s11, 2
	s_mov_b32 s10, 3
	;; [unrolled: 1-line block ×8, first 2 shown]
.LBB1_17:                               ;   in Loop: Header=BB1_6 Depth=1
	s_branch .LBB1_19
.LBB1_18:                               ;   in Loop: Header=BB1_6 Depth=1
	s_movk_i32 s14, 0xd0
	s_mov_b32 s11, 0
	s_mov_b32 s10, 4
	s_mov_b32 s9, 5
	s_mov_b32 s8, 1
	s_mov_b32 s12, s33
	s_mov_b32 s13, s30
	s_mov_b32 s15, s38
.LBB1_19:                               ;   in Loop: Header=BB1_6 Depth=1
	s_branch .LBB1_24
.LBB1_20:                               ;   in Loop: Header=BB1_6 Depth=1
	s_cmp_gt_i32 s18, 0
	s_mov_b64 s[6:7], -1
	s_cbranch_scc0 .LBB1_22
; %bb.21:                               ;   in Loop: Header=BB1_6 Depth=1
	s_mov_b64 s[6:7], 0
.LBB1_22:                               ;   in Loop: Header=BB1_6 Depth=1
	s_andn2_b64 vcc, exec, s[6:7]
	s_mov_b32 s11, 1
	s_cbranch_vccnz .LBB1_44
; %bb.23:                               ;   in Loop: Header=BB1_6 Depth=1
	s_cmp_lg_u32 s18, 0
	s_movk_i32 s14, 0xd0
	s_mov_b32 s10, 2
	s_mov_b32 s9, 6
	;; [unrolled: 1-line block ×3, first 2 shown]
	s_cselect_b64 s[4:5], -1, 0
	s_mov_b32 s12, s38
	s_mov_b32 s13, s34
	;; [unrolled: 1-line block ×4, first 2 shown]
.LBB1_24:                               ;   in Loop: Header=BB1_6 Depth=1
	s_and_b64 vcc, exec, s[4:5]
	s_cbranch_vccz .LBB1_26
.LBB1_25:                               ;   in Loop: Header=BB1_6 Depth=1
	s_mov_b32 s8, 5
	s_mov_b32 s9, 7
	s_mov_b32 s10, 6
	s_mov_b32 s11, 4
	s_mov_b32 s14, s38
	s_mov_b32 s15, s34
	s_mov_b32 s13, s39
	s_mov_b32 s12, s30
.LBB1_26:                               ;   in Loop: Header=BB1_6 Depth=1
	v_mov_b32_e32 v16, s14
	v_mov_b32_e32 v17, s15
	buffer_load_dword v8, v16, s[0:3], 0 offen
	buffer_load_dword v9, v16, s[0:3], 0 offen offset:4
	buffer_load_dword v14, v17, s[0:3], 0 offen
	buffer_load_dword v15, v17, s[0:3], 0 offen offset:4
	v_mov_b32_e32 v18, s13
	buffer_load_dword v16, v18, s[0:3], 0 offen
	buffer_load_dword v17, v18, s[0:3], 0 offen offset:4
	v_mov_b32_e32 v20, s12
	buffer_load_dword v18, v20, s[0:3], 0 offen
	buffer_load_dword v19, v20, s[0:3], 0 offen offset:4
	s_waitcnt vmcnt(4)
	v_add_f64 v[20:21], v[8:9], v[14:15]
	v_add_f64 v[8:9], v[8:9], -v[0:1]
	s_waitcnt vmcnt(2)
	v_add_f64 v[16:17], v[20:21], v[16:17]
	v_add_f64 v[20:21], v[14:15], -v[0:1]
	s_waitcnt vmcnt(0)
	v_add_f64 v[16:17], v[16:17], v[18:19]
	v_fma_f64 v[18:19], v[16:17], s[20:21], -v[0:1]
	v_mul_f64 v[16:17], v[32:33], v[8:9]
	v_mul_f64 v[8:9], v[32:33], v[20:21]
	;; [unrolled: 1-line block ×3, first 2 shown]
	v_cmp_ngt_f64_e32 vcc, 0, v[16:17]
	v_cmp_ngt_f64_e64 s[6:7], 0, v[8:9]
	v_cmp_ngt_f64_e64 s[4:5], 0, v[14:15]
	s_or_b64 s[4:5], vcc, s[4:5]
	s_or_b64 s[4:5], s[4:5], s[6:7]
	s_and_saveexec_b64 s[22:23], s[4:5]
	s_cbranch_execz .LBB1_36
; %bb.27:                               ;   in Loop: Header=BB1_6 Depth=1
	v_cmp_nle_f64_e32 vcc, 1.0, v[16:17]
	v_cmp_nle_f64_e64 s[4:5], 1.0, v[14:15]
	v_cmp_nle_f64_e64 s[6:7], 1.0, v[8:9]
	s_or_b64 s[4:5], vcc, s[4:5]
	s_or_b64 s[4:5], s[4:5], s[6:7]
	s_and_b64 exec, exec, s[4:5]
	s_cbranch_execz .LBB1_36
; %bb.28:                               ;   in Loop: Header=BB1_6 Depth=1
	s_lshl_b32 s4, s11, 3
	s_add_i32 s11, s4, 0xd0
	s_lshl_b32 s4, s10, 3
	v_mov_b32_e32 v22, s11
	s_add_i32 s10, s4, 0xd0
	v_mov_b32_e32 v23, s10
	buffer_load_dword v18, v22, s[0:3], 0 offen offset:64
	buffer_load_dword v19, v22, s[0:3], 0 offen offset:68
	;; [unrolled: 1-line block ×4, first 2 shown]
	s_lshl_b32 s4, s9, 3
	s_add_i32 s9, s4, 0xd0
	v_mov_b32_e32 v24, s9
	buffer_load_dword v22, v24, s[0:3], 0 offen offset:64
	buffer_load_dword v23, v24, s[0:3], 0 offen offset:68
	s_lshl_b32 s4, s8, 3
	s_add_i32 s8, s4, 0xd0
	v_mov_b32_e32 v26, s8
	buffer_load_dword v24, v26, s[0:3], 0 offen offset:64
	buffer_load_dword v25, v26, s[0:3], 0 offen offset:68
	s_waitcnt vmcnt(4)
	v_add_f64 v[26:27], v[18:19], v[20:21]
	v_add_f64 v[18:19], v[18:19], -v[4:5]
	s_waitcnt vmcnt(2)
	v_add_f64 v[22:23], v[26:27], v[22:23]
	v_add_f64 v[26:27], v[20:21], -v[4:5]
	s_waitcnt vmcnt(0)
	v_add_f64 v[22:23], v[22:23], v[24:25]
	v_fma_f64 v[24:25], v[22:23], s[20:21], -v[4:5]
	v_mul_f64 v[22:23], v[30:31], v[18:19]
	v_mul_f64 v[18:19], v[30:31], v[26:27]
	;; [unrolled: 1-line block ×3, first 2 shown]
	v_cmp_ngt_f64_e32 vcc, 0, v[22:23]
	v_cmp_ngt_f64_e64 s[6:7], 0, v[18:19]
	v_cmp_ngt_f64_e64 s[4:5], 0, v[20:21]
	s_or_b64 s[4:5], vcc, s[4:5]
	s_or_b64 s[4:5], s[4:5], s[6:7]
	s_and_b64 exec, exec, s[4:5]
	s_cbranch_execz .LBB1_36
; %bb.29:                               ;   in Loop: Header=BB1_6 Depth=1
	v_cmp_nle_f64_e32 vcc, 1.0, v[22:23]
	v_cmp_nle_f64_e64 s[4:5], 1.0, v[20:21]
	v_cmp_nle_f64_e64 s[6:7], 1.0, v[18:19]
	s_or_b64 s[4:5], vcc, s[4:5]
	s_or_b64 s[4:5], s[4:5], s[6:7]
	s_and_b64 exec, exec, s[4:5]
	s_cbranch_execz .LBB1_36
; %bb.30:                               ;   in Loop: Header=BB1_6 Depth=1
	v_mov_b32_e32 v26, s11
	v_mov_b32_e32 v27, s10
	buffer_load_dword v24, v26, s[0:3], 0 offen offset:128
	buffer_load_dword v25, v26, s[0:3], 0 offen offset:132
	;; [unrolled: 1-line block ×4, first 2 shown]
	v_mov_b32_e32 v36, s9
	buffer_load_dword v26, v36, s[0:3], 0 offen offset:128
	buffer_load_dword v27, v36, s[0:3], 0 offen offset:132
	v_mov_b32_e32 v42, s8
	buffer_load_dword v36, v42, s[0:3], 0 offen offset:128
	buffer_load_dword v37, v42, s[0:3], 0 offen offset:132
	s_waitcnt vmcnt(4)
	v_add_f64 v[42:43], v[24:25], v[40:41]
	s_waitcnt vmcnt(2)
	v_add_f64 v[26:27], v[42:43], v[26:27]
	;; [unrolled: 2-line block ×3, first 2 shown]
	v_add_f64 v[36:37], v[24:25], -v[6:7]
	v_add_f64 v[24:25], v[40:41], -v[6:7]
	v_fma_f64 v[26:27], v[26:27], s[20:21], -v[6:7]
	v_cmp_ngt_f64_e32 vcc, 0, v[36:37]
	v_cmp_ngt_f64_e64 s[6:7], 0, v[24:25]
	v_cmp_ngt_f64_e64 s[4:5], 0, v[26:27]
	s_or_b64 s[4:5], vcc, s[4:5]
	s_or_b64 s[4:5], s[4:5], s[6:7]
	s_and_b64 exec, exec, s[4:5]
	s_cbranch_execz .LBB1_36
; %bb.31:                               ;   in Loop: Header=BB1_6 Depth=1
	v_cmp_le_f64_e32 vcc, 0, v[16:17]
	v_cmp_le_f64_e64 s[4:5], 0, v[14:15]
	v_cmp_le_f64_e64 s[6:7], 0, v[8:9]
	v_cmp_gt_f64_e64 s[8:9], 1.0, v[16:17]
	v_cmp_gt_f64_e64 s[10:11], 1.0, v[14:15]
	;; [unrolled: 1-line block ×3, first 2 shown]
	v_cmp_le_f64_e64 s[14:15], 0, v[22:23]
	v_cmp_le_f64_e64 s[16:17], 0, v[20:21]
	v_mov_b32_e32 v8, 8
	s_and_b64 s[4:5], vcc, s[4:5]
	s_and_b64 s[4:5], s[4:5], s[6:7]
	v_cmp_le_f64_e32 vcc, 0, v[18:19]
	s_and_b64 s[26:27], s[8:9], s[4:5]
	v_cmp_gt_f64_e64 s[4:5], 1.0, v[22:23]
	v_cmp_gt_f64_e64 s[6:7], 1.0, v[20:21]
	;; [unrolled: 1-line block ×3, first 2 shown]
	s_and_b64 s[10:11], s[26:27], s[10:11]
	s_and_b64 s[10:11], s[10:11], s[12:13]
	;; [unrolled: 1-line block ×4, first 2 shown]
	s_and_b64 s[10:11], s[10:11], vcc
	s_and_b64 s[4:5], s[4:5], s[10:11]
	s_and_b64 s[4:5], s[4:5], s[6:7]
	;; [unrolled: 1-line block ×3, first 2 shown]
	s_and_saveexec_b64 s[14:15], s[4:5]
	s_cbranch_execz .LBB1_35
; %bb.32:                               ;   in Loop: Header=BB1_6 Depth=1
	v_cmp_nge_f64_e32 vcc, v[36:37], v[34:35]
	v_cmp_nge_f64_e64 s[4:5], v[26:27], v[34:35]
	v_cmp_nge_f64_e64 s[6:7], v[24:25], v[34:35]
	v_mov_b32_e32 v8, 4
	s_or_b64 s[4:5], vcc, s[4:5]
	s_or_b64 s[4:5], s[4:5], s[6:7]
	s_and_saveexec_b64 s[16:17], s[4:5]
	s_cbranch_execz .LBB1_34
; %bb.33:                               ;   in Loop: Header=BB1_6 Depth=1
	v_cmp_le_f64_e32 vcc, 0, v[36:37]
	v_cmp_le_f64_e64 s[4:5], 0, v[26:27]
	v_cmp_le_f64_e64 s[6:7], 0, v[24:25]
	v_cmp_lt_f64_e64 s[8:9], v[36:37], v[34:35]
	v_cmp_lt_f64_e64 s[10:11], v[26:27], v[34:35]
	;; [unrolled: 1-line block ×3, first 2 shown]
	s_and_b64 s[4:5], vcc, s[4:5]
	s_and_b64 s[4:5], s[4:5], s[6:7]
	s_and_b64 s[4:5], s[8:9], s[4:5]
	;; [unrolled: 1-line block ×3, first 2 shown]
	s_and_b64 vcc, s[4:5], s[12:13]
	v_cndmask_b32_e32 v8, v38, v39, vcc
.LBB1_34:                               ;   in Loop: Header=BB1_6 Depth=1
	s_or_b64 exec, exec, s[16:17]
.LBB1_35:                               ;   in Loop: Header=BB1_6 Depth=1
	s_or_b64 exec, exec, s[14:15]
	buffer_load_dword v9, v8, s[0:3], 0 offen
	s_waitcnt vmcnt(0)
	v_lshl_or_b32 v9, 1, s24, v9
	buffer_store_dword v9, v8, s[0:3], 0 offen
.LBB1_36:                               ;   in Loop: Header=BB1_6 Depth=1
	s_or_b64 exec, exec, s[22:23]
	s_cmp_lt_i32 s18, 2
	s_cbranch_scc1 .LBB1_43
; %bb.37:                               ;   in Loop: Header=BB1_6 Depth=1
	s_cmp_gt_i32 s18, 2
	s_cbranch_scc0 .LBB1_45
; %bb.38:                               ;   in Loop: Header=BB1_6 Depth=1
	s_cmp_gt_i32 s18, 3
	s_cbranch_scc0 .LBB1_46
; %bb.39:                               ;   in Loop: Header=BB1_6 Depth=1
	s_cmp_eq_u32 s18, 4
	s_mov_b64 s[4:5], -1
	s_cbranch_scc0 .LBB1_41
; %bb.40:                               ;   in Loop: Header=BB1_6 Depth=1
	s_mov_b64 s[4:5], 0
.LBB1_41:                               ;   in Loop: Header=BB1_6 Depth=1
.LBB1_42:                               ;   in Loop: Header=BB1_6 Depth=1
	s_movk_i32 s14, 0xd0
	s_mov_b32 s11, 0
	s_mov_b32 s10, 1
	;; [unrolled: 1-line block ×7, first 2 shown]
	s_branch .LBB1_48
.LBB1_43:                               ;   in Loop: Header=BB1_6 Depth=1
	s_mov_b64 s[4:5], 0
                                        ; implicit-def: $sgpr8
                                        ; implicit-def: $sgpr12
                                        ; implicit-def: $sgpr9
                                        ; implicit-def: $sgpr13
                                        ; implicit-def: $sgpr10
                                        ; implicit-def: $sgpr15
                                        ; implicit-def: $sgpr11
                                        ; implicit-def: $sgpr14
	s_cbranch_execnz .LBB1_51
	s_branch .LBB1_55
.LBB1_44:                               ;   in Loop: Header=BB1_6 Depth=1
	s_mov_b32 s10, 5
	s_mov_b32 s9, 7
	;; [unrolled: 1-line block ×7, first 2 shown]
	s_and_b64 vcc, exec, s[4:5]
	s_cbranch_vccnz .LBB1_25
	s_branch .LBB1_26
.LBB1_45:                               ;   in Loop: Header=BB1_6 Depth=1
	s_mov_b64 s[4:5], 0
                                        ; implicit-def: $sgpr8
                                        ; implicit-def: $sgpr12
                                        ; implicit-def: $sgpr9
                                        ; implicit-def: $sgpr13
                                        ; implicit-def: $sgpr10
                                        ; implicit-def: $sgpr15
                                        ; implicit-def: $sgpr11
                                        ; implicit-def: $sgpr14
	s_cbranch_execnz .LBB1_49
	s_branch .LBB1_50
.LBB1_46:                               ;   in Loop: Header=BB1_6 Depth=1
	s_mov_b64 s[4:5], 0
	s_cbranch_execz .LBB1_42
; %bb.47:                               ;   in Loop: Header=BB1_6 Depth=1
	s_mov_b32 s11, 2
	s_mov_b32 s10, 3
	;; [unrolled: 1-line block ×8, first 2 shown]
.LBB1_48:                               ;   in Loop: Header=BB1_6 Depth=1
	s_branch .LBB1_50
.LBB1_49:                               ;   in Loop: Header=BB1_6 Depth=1
	s_movk_i32 s14, 0xd0
	s_mov_b32 s11, 0
	s_mov_b32 s10, 4
	;; [unrolled: 1-line block ×7, first 2 shown]
.LBB1_50:                               ;   in Loop: Header=BB1_6 Depth=1
	s_branch .LBB1_55
.LBB1_51:                               ;   in Loop: Header=BB1_6 Depth=1
	s_cmp_gt_i32 s18, 0
	s_mov_b64 s[6:7], -1
	s_cbranch_scc0 .LBB1_53
; %bb.52:                               ;   in Loop: Header=BB1_6 Depth=1
	s_mov_b64 s[6:7], 0
.LBB1_53:                               ;   in Loop: Header=BB1_6 Depth=1
	s_andn2_b64 vcc, exec, s[6:7]
	s_mov_b32 s11, 1
	s_cbranch_vccnz .LBB1_75
; %bb.54:                               ;   in Loop: Header=BB1_6 Depth=1
	s_cmp_lg_u32 s18, 0
	s_movk_i32 s14, 0xd0
	s_mov_b32 s10, 2
	s_mov_b32 s9, 6
	;; [unrolled: 1-line block ×3, first 2 shown]
	s_cselect_b64 s[4:5], -1, 0
	s_mov_b32 s12, s38
	s_mov_b32 s13, s34
	;; [unrolled: 1-line block ×4, first 2 shown]
.LBB1_55:                               ;   in Loop: Header=BB1_6 Depth=1
	s_and_b64 vcc, exec, s[4:5]
	s_cbranch_vccz .LBB1_57
.LBB1_56:                               ;   in Loop: Header=BB1_6 Depth=1
	s_mov_b32 s8, 5
	s_mov_b32 s9, 7
	s_mov_b32 s10, 6
	s_mov_b32 s11, 4
	s_mov_b32 s14, s38
	s_mov_b32 s15, s34
	s_mov_b32 s13, s39
	s_mov_b32 s12, s30
.LBB1_57:                               ;   in Loop: Header=BB1_6 Depth=1
	v_mov_b32_e32 v16, s14
	v_mov_b32_e32 v17, s15
	buffer_load_dword v8, v16, s[0:3], 0 offen
	buffer_load_dword v9, v16, s[0:3], 0 offen offset:4
	buffer_load_dword v14, v17, s[0:3], 0 offen
	buffer_load_dword v15, v17, s[0:3], 0 offen offset:4
	v_mov_b32_e32 v18, s13
	buffer_load_dword v16, v18, s[0:3], 0 offen
	buffer_load_dword v17, v18, s[0:3], 0 offen offset:4
	v_mov_b32_e32 v20, s12
	buffer_load_dword v18, v20, s[0:3], 0 offen
	buffer_load_dword v19, v20, s[0:3], 0 offen offset:4
	s_waitcnt vmcnt(4)
	v_add_f64 v[8:9], v[8:9], v[14:15]
	v_add_f64 v[14:15], v[14:15], -v[0:1]
	s_waitcnt vmcnt(2)
	v_add_f64 v[8:9], v[8:9], v[16:17]
	s_waitcnt vmcnt(0)
	v_add_f64 v[8:9], v[8:9], v[18:19]
	v_add_f64 v[18:19], v[16:17], -v[0:1]
	v_mul_f64 v[16:17], v[32:33], v[14:15]
	v_fma_f64 v[8:9], v[8:9], s[20:21], -v[0:1]
	v_cmp_ngt_f64_e32 vcc, 0, v[16:17]
	v_mul_f64 v[14:15], v[32:33], v[8:9]
	v_mul_f64 v[8:9], v[32:33], v[18:19]
	v_cmp_ngt_f64_e64 s[4:5], 0, v[14:15]
	v_cmp_ngt_f64_e64 s[6:7], 0, v[8:9]
	s_or_b64 s[4:5], vcc, s[4:5]
	s_or_b64 s[4:5], s[4:5], s[6:7]
	s_and_saveexec_b64 s[22:23], s[4:5]
	s_cbranch_execz .LBB1_67
; %bb.58:                               ;   in Loop: Header=BB1_6 Depth=1
	v_cmp_nle_f64_e32 vcc, 1.0, v[16:17]
	v_cmp_nle_f64_e64 s[4:5], 1.0, v[14:15]
	v_cmp_nle_f64_e64 s[6:7], 1.0, v[8:9]
	s_or_b64 s[4:5], vcc, s[4:5]
	s_or_b64 s[4:5], s[4:5], s[6:7]
	s_and_b64 exec, exec, s[4:5]
	s_cbranch_execz .LBB1_67
; %bb.59:                               ;   in Loop: Header=BB1_6 Depth=1
	s_lshl_b32 s4, s11, 3
	s_add_i32 s11, s4, 0xd0
	s_lshl_b32 s4, s10, 3
	v_mov_b32_e32 v22, s11
	s_add_i32 s10, s4, 0xd0
	v_mov_b32_e32 v23, s10
	buffer_load_dword v18, v22, s[0:3], 0 offen offset:64
	buffer_load_dword v19, v22, s[0:3], 0 offen offset:68
	;; [unrolled: 1-line block ×4, first 2 shown]
	s_lshl_b32 s4, s9, 3
	s_add_i32 s9, s4, 0xd0
	v_mov_b32_e32 v24, s9
	buffer_load_dword v22, v24, s[0:3], 0 offen offset:64
	buffer_load_dword v23, v24, s[0:3], 0 offen offset:68
	s_lshl_b32 s4, s8, 3
	s_add_i32 s8, s4, 0xd0
	v_mov_b32_e32 v26, s8
	buffer_load_dword v24, v26, s[0:3], 0 offen offset:64
	buffer_load_dword v25, v26, s[0:3], 0 offen offset:68
	s_waitcnt vmcnt(4)
	v_add_f64 v[18:19], v[18:19], v[20:21]
	v_add_f64 v[20:21], v[20:21], -v[4:5]
	s_waitcnt vmcnt(2)
	v_add_f64 v[18:19], v[18:19], v[22:23]
	s_waitcnt vmcnt(0)
	v_add_f64 v[18:19], v[18:19], v[24:25]
	v_add_f64 v[24:25], v[22:23], -v[4:5]
	v_mul_f64 v[22:23], v[30:31], v[20:21]
	v_fma_f64 v[18:19], v[18:19], s[20:21], -v[4:5]
	v_cmp_ngt_f64_e32 vcc, 0, v[22:23]
	v_mul_f64 v[20:21], v[30:31], v[18:19]
	v_mul_f64 v[18:19], v[30:31], v[24:25]
	v_cmp_ngt_f64_e64 s[4:5], 0, v[20:21]
	v_cmp_ngt_f64_e64 s[6:7], 0, v[18:19]
	s_or_b64 s[4:5], vcc, s[4:5]
	s_or_b64 s[4:5], s[4:5], s[6:7]
	s_and_b64 exec, exec, s[4:5]
	s_cbranch_execz .LBB1_67
; %bb.60:                               ;   in Loop: Header=BB1_6 Depth=1
	v_cmp_nle_f64_e32 vcc, 1.0, v[22:23]
	v_cmp_nle_f64_e64 s[4:5], 1.0, v[20:21]
	v_cmp_nle_f64_e64 s[6:7], 1.0, v[18:19]
	s_or_b64 s[4:5], vcc, s[4:5]
	s_or_b64 s[4:5], s[4:5], s[6:7]
	s_and_b64 exec, exec, s[4:5]
	s_cbranch_execz .LBB1_67
; %bb.61:                               ;   in Loop: Header=BB1_6 Depth=1
	v_mov_b32_e32 v36, s11
	v_mov_b32_e32 v37, s10
	buffer_load_dword v24, v36, s[0:3], 0 offen offset:128
	buffer_load_dword v25, v36, s[0:3], 0 offen offset:132
	;; [unrolled: 1-line block ×4, first 2 shown]
	v_mov_b32_e32 v36, s9
	buffer_load_dword v40, v36, s[0:3], 0 offen offset:128
	buffer_load_dword v41, v36, s[0:3], 0 offen offset:132
	v_mov_b32_e32 v42, s8
	buffer_load_dword v36, v42, s[0:3], 0 offen offset:128
	buffer_load_dword v37, v42, s[0:3], 0 offen offset:132
	s_waitcnt vmcnt(4)
	v_add_f64 v[24:25], v[24:25], v[26:27]
	s_waitcnt vmcnt(2)
	v_add_f64 v[24:25], v[24:25], v[40:41]
	;; [unrolled: 2-line block ×3, first 2 shown]
	v_add_f64 v[36:37], v[26:27], -v[6:7]
	v_fma_f64 v[26:27], v[24:25], s[20:21], -v[6:7]
	v_add_f64 v[24:25], v[40:41], -v[6:7]
	v_cmp_ngt_f64_e32 vcc, 0, v[36:37]
	v_cmp_ngt_f64_e64 s[4:5], 0, v[26:27]
	v_cmp_ngt_f64_e64 s[6:7], 0, v[24:25]
	s_or_b64 s[4:5], vcc, s[4:5]
	s_or_b64 s[4:5], s[4:5], s[6:7]
	s_and_b64 exec, exec, s[4:5]
	s_cbranch_execz .LBB1_67
; %bb.62:                               ;   in Loop: Header=BB1_6 Depth=1
	v_cmp_le_f64_e32 vcc, 0, v[16:17]
	v_cmp_le_f64_e64 s[4:5], 0, v[14:15]
	v_cmp_le_f64_e64 s[6:7], 0, v[8:9]
	v_cmp_gt_f64_e64 s[8:9], 1.0, v[16:17]
	v_cmp_gt_f64_e64 s[10:11], 1.0, v[14:15]
	;; [unrolled: 1-line block ×3, first 2 shown]
	v_cmp_le_f64_e64 s[14:15], 0, v[22:23]
	v_cmp_le_f64_e64 s[16:17], 0, v[20:21]
	v_mov_b32_e32 v8, 8
	s_and_b64 s[4:5], vcc, s[4:5]
	s_and_b64 s[4:5], s[4:5], s[6:7]
	v_cmp_le_f64_e32 vcc, 0, v[18:19]
	s_and_b64 s[26:27], s[8:9], s[4:5]
	v_cmp_gt_f64_e64 s[4:5], 1.0, v[22:23]
	v_cmp_gt_f64_e64 s[6:7], 1.0, v[20:21]
	;; [unrolled: 1-line block ×3, first 2 shown]
	s_and_b64 s[10:11], s[26:27], s[10:11]
	s_and_b64 s[10:11], s[10:11], s[12:13]
	;; [unrolled: 1-line block ×4, first 2 shown]
	s_and_b64 s[10:11], s[10:11], vcc
	s_and_b64 s[4:5], s[4:5], s[10:11]
	s_and_b64 s[4:5], s[4:5], s[6:7]
	s_and_b64 s[4:5], s[4:5], s[8:9]
	s_and_saveexec_b64 s[14:15], s[4:5]
	s_cbranch_execz .LBB1_66
; %bb.63:                               ;   in Loop: Header=BB1_6 Depth=1
	v_cmp_nge_f64_e32 vcc, v[36:37], v[34:35]
	v_cmp_nge_f64_e64 s[4:5], v[26:27], v[34:35]
	v_cmp_nge_f64_e64 s[6:7], v[24:25], v[34:35]
	v_mov_b32_e32 v8, 4
	s_or_b64 s[4:5], vcc, s[4:5]
	s_or_b64 s[4:5], s[4:5], s[6:7]
	s_and_saveexec_b64 s[16:17], s[4:5]
	s_cbranch_execz .LBB1_65
; %bb.64:                               ;   in Loop: Header=BB1_6 Depth=1
	v_cmp_le_f64_e32 vcc, 0, v[36:37]
	v_cmp_le_f64_e64 s[4:5], 0, v[26:27]
	v_cmp_le_f64_e64 s[6:7], 0, v[24:25]
	v_cmp_lt_f64_e64 s[8:9], v[36:37], v[34:35]
	v_cmp_lt_f64_e64 s[10:11], v[26:27], v[34:35]
	;; [unrolled: 1-line block ×3, first 2 shown]
	s_and_b64 s[4:5], vcc, s[4:5]
	s_and_b64 s[4:5], s[4:5], s[6:7]
	s_and_b64 s[4:5], s[8:9], s[4:5]
	;; [unrolled: 1-line block ×3, first 2 shown]
	s_and_b64 vcc, s[4:5], s[12:13]
	v_cndmask_b32_e32 v8, v38, v39, vcc
.LBB1_65:                               ;   in Loop: Header=BB1_6 Depth=1
	s_or_b64 exec, exec, s[16:17]
.LBB1_66:                               ;   in Loop: Header=BB1_6 Depth=1
	s_or_b64 exec, exec, s[14:15]
	buffer_load_dword v9, v8, s[0:3], 0 offen
	s_waitcnt vmcnt(0)
	v_lshl_or_b32 v9, 2, s24, v9
	buffer_store_dword v9, v8, s[0:3], 0 offen
.LBB1_67:                               ;   in Loop: Header=BB1_6 Depth=1
	s_or_b64 exec, exec, s[22:23]
	s_cmp_lt_i32 s18, 2
	s_cbranch_scc1 .LBB1_74
; %bb.68:                               ;   in Loop: Header=BB1_6 Depth=1
	s_cmp_gt_i32 s18, 2
	s_cbranch_scc0 .LBB1_76
; %bb.69:                               ;   in Loop: Header=BB1_6 Depth=1
	s_cmp_gt_i32 s18, 3
	s_cbranch_scc0 .LBB1_77
; %bb.70:                               ;   in Loop: Header=BB1_6 Depth=1
	s_cmp_eq_u32 s18, 4
	s_mov_b64 s[4:5], -1
	s_cbranch_scc0 .LBB1_72
; %bb.71:                               ;   in Loop: Header=BB1_6 Depth=1
	s_mov_b64 s[4:5], 0
.LBB1_72:                               ;   in Loop: Header=BB1_6 Depth=1
.LBB1_73:                               ;   in Loop: Header=BB1_6 Depth=1
	s_movk_i32 s14, 0xd0
	s_mov_b32 s11, 0
	s_mov_b32 s10, 1
	;; [unrolled: 1-line block ×7, first 2 shown]
	s_branch .LBB1_79
.LBB1_74:                               ;   in Loop: Header=BB1_6 Depth=1
	s_mov_b64 s[4:5], 0
                                        ; implicit-def: $sgpr8
                                        ; implicit-def: $sgpr12
                                        ; implicit-def: $sgpr9
                                        ; implicit-def: $sgpr13
                                        ; implicit-def: $sgpr10
                                        ; implicit-def: $sgpr15
                                        ; implicit-def: $sgpr11
                                        ; implicit-def: $sgpr14
	s_cbranch_execnz .LBB1_82
	s_branch .LBB1_86
.LBB1_75:                               ;   in Loop: Header=BB1_6 Depth=1
	s_mov_b32 s10, 5
	s_mov_b32 s9, 7
	;; [unrolled: 1-line block ×7, first 2 shown]
	s_and_b64 vcc, exec, s[4:5]
	s_cbranch_vccnz .LBB1_56
	s_branch .LBB1_57
.LBB1_76:                               ;   in Loop: Header=BB1_6 Depth=1
	s_mov_b64 s[4:5], 0
                                        ; implicit-def: $sgpr8
                                        ; implicit-def: $sgpr12
                                        ; implicit-def: $sgpr9
                                        ; implicit-def: $sgpr13
                                        ; implicit-def: $sgpr10
                                        ; implicit-def: $sgpr15
                                        ; implicit-def: $sgpr11
                                        ; implicit-def: $sgpr14
	s_cbranch_execnz .LBB1_80
	s_branch .LBB1_81
.LBB1_77:                               ;   in Loop: Header=BB1_6 Depth=1
	s_mov_b64 s[4:5], 0
	s_cbranch_execz .LBB1_73
; %bb.78:                               ;   in Loop: Header=BB1_6 Depth=1
	s_mov_b32 s11, 2
	s_mov_b32 s10, 3
	;; [unrolled: 1-line block ×8, first 2 shown]
.LBB1_79:                               ;   in Loop: Header=BB1_6 Depth=1
	s_branch .LBB1_81
.LBB1_80:                               ;   in Loop: Header=BB1_6 Depth=1
	s_movk_i32 s14, 0xd0
	s_mov_b32 s11, 0
	s_mov_b32 s10, 4
	;; [unrolled: 1-line block ×7, first 2 shown]
.LBB1_81:                               ;   in Loop: Header=BB1_6 Depth=1
	s_branch .LBB1_86
.LBB1_82:                               ;   in Loop: Header=BB1_6 Depth=1
	s_cmp_gt_i32 s18, 0
	s_mov_b64 s[6:7], -1
	s_cbranch_scc0 .LBB1_84
; %bb.83:                               ;   in Loop: Header=BB1_6 Depth=1
	s_mov_b64 s[6:7], 0
.LBB1_84:                               ;   in Loop: Header=BB1_6 Depth=1
	s_andn2_b64 vcc, exec, s[6:7]
	s_mov_b32 s11, 1
	s_cbranch_vccnz .LBB1_106
; %bb.85:                               ;   in Loop: Header=BB1_6 Depth=1
	s_cmp_lg_u32 s18, 0
	s_movk_i32 s14, 0xd0
	s_mov_b32 s10, 2
	s_mov_b32 s9, 6
	;; [unrolled: 1-line block ×3, first 2 shown]
	s_cselect_b64 s[4:5], -1, 0
	s_mov_b32 s12, s38
	s_mov_b32 s13, s34
	;; [unrolled: 1-line block ×4, first 2 shown]
.LBB1_86:                               ;   in Loop: Header=BB1_6 Depth=1
	s_and_b64 vcc, exec, s[4:5]
	s_cbranch_vccz .LBB1_88
.LBB1_87:                               ;   in Loop: Header=BB1_6 Depth=1
	s_mov_b32 s8, 5
	s_mov_b32 s9, 7
	;; [unrolled: 1-line block ×8, first 2 shown]
.LBB1_88:                               ;   in Loop: Header=BB1_6 Depth=1
	v_mov_b32_e32 v16, s14
	v_mov_b32_e32 v17, s15
	buffer_load_dword v8, v16, s[0:3], 0 offen
	buffer_load_dword v9, v16, s[0:3], 0 offen offset:4
	buffer_load_dword v14, v17, s[0:3], 0 offen
	buffer_load_dword v15, v17, s[0:3], 0 offen offset:4
	v_mov_b32_e32 v18, s13
	buffer_load_dword v16, v18, s[0:3], 0 offen
	buffer_load_dword v17, v18, s[0:3], 0 offen offset:4
	v_mov_b32_e32 v20, s12
	buffer_load_dword v18, v20, s[0:3], 0 offen
	buffer_load_dword v19, v20, s[0:3], 0 offen offset:4
	s_waitcnt vmcnt(4)
	v_add_f64 v[8:9], v[8:9], v[14:15]
	s_waitcnt vmcnt(2)
	v_add_f64 v[14:15], v[16:17], -v[0:1]
	v_add_f64 v[8:9], v[8:9], v[16:17]
	v_mul_f64 v[16:17], v[32:33], v[14:15]
	s_waitcnt vmcnt(0)
	v_add_f64 v[8:9], v[8:9], v[18:19]
	v_add_f64 v[18:19], v[18:19], -v[0:1]
	v_cmp_ngt_f64_e32 vcc, 0, v[16:17]
	v_fma_f64 v[8:9], v[8:9], s[20:21], -v[0:1]
	v_mul_f64 v[14:15], v[32:33], v[8:9]
	v_mul_f64 v[8:9], v[32:33], v[18:19]
	v_cmp_ngt_f64_e64 s[4:5], 0, v[14:15]
	v_cmp_ngt_f64_e64 s[6:7], 0, v[8:9]
	s_or_b64 s[4:5], vcc, s[4:5]
	s_or_b64 s[4:5], s[4:5], s[6:7]
	s_and_saveexec_b64 s[22:23], s[4:5]
	s_cbranch_execz .LBB1_98
; %bb.89:                               ;   in Loop: Header=BB1_6 Depth=1
	v_cmp_nle_f64_e32 vcc, 1.0, v[16:17]
	v_cmp_nle_f64_e64 s[4:5], 1.0, v[14:15]
	v_cmp_nle_f64_e64 s[6:7], 1.0, v[8:9]
	s_or_b64 s[4:5], vcc, s[4:5]
	s_or_b64 s[4:5], s[4:5], s[6:7]
	s_and_b64 exec, exec, s[4:5]
	s_cbranch_execz .LBB1_98
; %bb.90:                               ;   in Loop: Header=BB1_6 Depth=1
	s_lshl_b32 s4, s11, 3
	s_add_i32 s11, s4, 0xd0
	s_lshl_b32 s4, s10, 3
	v_mov_b32_e32 v22, s11
	s_add_i32 s10, s4, 0xd0
	v_mov_b32_e32 v23, s10
	buffer_load_dword v18, v22, s[0:3], 0 offen offset:64
	buffer_load_dword v19, v22, s[0:3], 0 offen offset:68
	;; [unrolled: 1-line block ×4, first 2 shown]
	s_lshl_b32 s4, s9, 3
	s_add_i32 s9, s4, 0xd0
	v_mov_b32_e32 v24, s9
	buffer_load_dword v22, v24, s[0:3], 0 offen offset:64
	buffer_load_dword v23, v24, s[0:3], 0 offen offset:68
	s_lshl_b32 s4, s8, 3
	s_add_i32 s8, s4, 0xd0
	v_mov_b32_e32 v26, s8
	buffer_load_dword v24, v26, s[0:3], 0 offen offset:64
	buffer_load_dword v25, v26, s[0:3], 0 offen offset:68
	s_waitcnt vmcnt(4)
	v_add_f64 v[18:19], v[18:19], v[20:21]
	s_waitcnt vmcnt(2)
	v_add_f64 v[20:21], v[22:23], -v[4:5]
	v_add_f64 v[18:19], v[18:19], v[22:23]
	v_mul_f64 v[22:23], v[30:31], v[20:21]
	s_waitcnt vmcnt(0)
	v_add_f64 v[18:19], v[18:19], v[24:25]
	v_add_f64 v[24:25], v[24:25], -v[4:5]
	v_cmp_ngt_f64_e32 vcc, 0, v[22:23]
	v_fma_f64 v[18:19], v[18:19], s[20:21], -v[4:5]
	v_mul_f64 v[20:21], v[30:31], v[18:19]
	v_mul_f64 v[18:19], v[30:31], v[24:25]
	v_cmp_ngt_f64_e64 s[4:5], 0, v[20:21]
	v_cmp_ngt_f64_e64 s[6:7], 0, v[18:19]
	s_or_b64 s[4:5], vcc, s[4:5]
	s_or_b64 s[4:5], s[4:5], s[6:7]
	s_and_b64 exec, exec, s[4:5]
	s_cbranch_execz .LBB1_98
; %bb.91:                               ;   in Loop: Header=BB1_6 Depth=1
	v_cmp_nle_f64_e32 vcc, 1.0, v[22:23]
	v_cmp_nle_f64_e64 s[4:5], 1.0, v[20:21]
	v_cmp_nle_f64_e64 s[6:7], 1.0, v[18:19]
	s_or_b64 s[4:5], vcc, s[4:5]
	s_or_b64 s[4:5], s[4:5], s[6:7]
	s_and_b64 exec, exec, s[4:5]
	s_cbranch_execz .LBB1_98
; %bb.92:                               ;   in Loop: Header=BB1_6 Depth=1
	v_mov_b32_e32 v36, s11
	v_mov_b32_e32 v37, s10
	buffer_load_dword v24, v36, s[0:3], 0 offen offset:128
	buffer_load_dword v25, v36, s[0:3], 0 offen offset:132
	;; [unrolled: 1-line block ×4, first 2 shown]
	v_mov_b32_e32 v40, s9
	buffer_load_dword v36, v40, s[0:3], 0 offen offset:128
	buffer_load_dword v37, v40, s[0:3], 0 offen offset:132
	v_mov_b32_e32 v42, s8
	buffer_load_dword v40, v42, s[0:3], 0 offen offset:128
	buffer_load_dword v41, v42, s[0:3], 0 offen offset:132
	s_waitcnt vmcnt(4)
	v_add_f64 v[24:25], v[24:25], v[26:27]
	s_waitcnt vmcnt(2)
	v_add_f64 v[24:25], v[24:25], v[36:37]
	v_add_f64 v[36:37], v[36:37], -v[6:7]
	s_waitcnt vmcnt(0)
	v_add_f64 v[24:25], v[24:25], v[40:41]
	v_cmp_ngt_f64_e32 vcc, 0, v[36:37]
	v_fma_f64 v[26:27], v[24:25], s[20:21], -v[6:7]
	v_add_f64 v[24:25], v[40:41], -v[6:7]
	v_cmp_ngt_f64_e64 s[4:5], 0, v[26:27]
	v_cmp_ngt_f64_e64 s[6:7], 0, v[24:25]
	s_or_b64 s[4:5], vcc, s[4:5]
	s_or_b64 s[4:5], s[4:5], s[6:7]
	s_and_b64 exec, exec, s[4:5]
	s_cbranch_execz .LBB1_98
; %bb.93:                               ;   in Loop: Header=BB1_6 Depth=1
	v_cmp_le_f64_e32 vcc, 0, v[16:17]
	v_cmp_le_f64_e64 s[4:5], 0, v[14:15]
	v_cmp_le_f64_e64 s[6:7], 0, v[8:9]
	v_cmp_gt_f64_e64 s[8:9], 1.0, v[16:17]
	v_cmp_gt_f64_e64 s[10:11], 1.0, v[14:15]
	v_cmp_gt_f64_e64 s[12:13], 1.0, v[8:9]
	v_cmp_le_f64_e64 s[14:15], 0, v[22:23]
	v_cmp_le_f64_e64 s[16:17], 0, v[20:21]
	v_mov_b32_e32 v8, 8
	s_and_b64 s[4:5], vcc, s[4:5]
	s_and_b64 s[4:5], s[4:5], s[6:7]
	v_cmp_le_f64_e32 vcc, 0, v[18:19]
	s_and_b64 s[26:27], s[8:9], s[4:5]
	v_cmp_gt_f64_e64 s[4:5], 1.0, v[22:23]
	v_cmp_gt_f64_e64 s[6:7], 1.0, v[20:21]
	;; [unrolled: 1-line block ×3, first 2 shown]
	s_and_b64 s[10:11], s[26:27], s[10:11]
	s_and_b64 s[10:11], s[10:11], s[12:13]
	;; [unrolled: 1-line block ×4, first 2 shown]
	s_and_b64 s[10:11], s[10:11], vcc
	s_and_b64 s[4:5], s[4:5], s[10:11]
	s_and_b64 s[4:5], s[4:5], s[6:7]
	;; [unrolled: 1-line block ×3, first 2 shown]
	s_and_saveexec_b64 s[14:15], s[4:5]
	s_cbranch_execz .LBB1_97
; %bb.94:                               ;   in Loop: Header=BB1_6 Depth=1
	v_cmp_nge_f64_e32 vcc, v[36:37], v[34:35]
	v_cmp_nge_f64_e64 s[4:5], v[26:27], v[34:35]
	v_cmp_nge_f64_e64 s[6:7], v[24:25], v[34:35]
	v_mov_b32_e32 v8, 4
	s_or_b64 s[4:5], vcc, s[4:5]
	s_or_b64 s[4:5], s[4:5], s[6:7]
	s_and_saveexec_b64 s[16:17], s[4:5]
	s_cbranch_execz .LBB1_96
; %bb.95:                               ;   in Loop: Header=BB1_6 Depth=1
	v_cmp_le_f64_e32 vcc, 0, v[36:37]
	v_cmp_le_f64_e64 s[4:5], 0, v[26:27]
	v_cmp_le_f64_e64 s[6:7], 0, v[24:25]
	v_cmp_lt_f64_e64 s[8:9], v[36:37], v[34:35]
	v_cmp_lt_f64_e64 s[10:11], v[26:27], v[34:35]
	;; [unrolled: 1-line block ×3, first 2 shown]
	s_and_b64 s[4:5], vcc, s[4:5]
	s_and_b64 s[4:5], s[4:5], s[6:7]
	s_and_b64 s[4:5], s[8:9], s[4:5]
	;; [unrolled: 1-line block ×3, first 2 shown]
	s_and_b64 vcc, s[4:5], s[12:13]
	v_cndmask_b32_e32 v8, v38, v39, vcc
.LBB1_96:                               ;   in Loop: Header=BB1_6 Depth=1
	s_or_b64 exec, exec, s[16:17]
.LBB1_97:                               ;   in Loop: Header=BB1_6 Depth=1
	s_or_b64 exec, exec, s[14:15]
	buffer_load_dword v9, v8, s[0:3], 0 offen
	s_waitcnt vmcnt(0)
	v_lshl_or_b32 v9, 4, s24, v9
	buffer_store_dword v9, v8, s[0:3], 0 offen
.LBB1_98:                               ;   in Loop: Header=BB1_6 Depth=1
	s_or_b64 exec, exec, s[22:23]
	s_cmp_lt_i32 s18, 2
	s_cbranch_scc1 .LBB1_105
; %bb.99:                               ;   in Loop: Header=BB1_6 Depth=1
	s_cmp_gt_i32 s18, 2
	s_cbranch_scc0 .LBB1_107
; %bb.100:                              ;   in Loop: Header=BB1_6 Depth=1
	s_cmp_gt_i32 s18, 3
	s_cbranch_scc0 .LBB1_108
; %bb.101:                              ;   in Loop: Header=BB1_6 Depth=1
	s_cmp_eq_u32 s18, 4
	s_mov_b64 s[4:5], -1
	s_cbranch_scc0 .LBB1_103
; %bb.102:                              ;   in Loop: Header=BB1_6 Depth=1
	s_mov_b64 s[4:5], 0
.LBB1_103:                              ;   in Loop: Header=BB1_6 Depth=1
.LBB1_104:                              ;   in Loop: Header=BB1_6 Depth=1
	s_movk_i32 s14, 0xd0
	s_mov_b32 s11, 0
	s_mov_b32 s10, 1
	;; [unrolled: 1-line block ×7, first 2 shown]
	s_branch .LBB1_110
.LBB1_105:                              ;   in Loop: Header=BB1_6 Depth=1
	s_mov_b64 s[4:5], 0
                                        ; implicit-def: $sgpr8
                                        ; implicit-def: $sgpr12
                                        ; implicit-def: $sgpr9
                                        ; implicit-def: $sgpr13
                                        ; implicit-def: $sgpr10
                                        ; implicit-def: $sgpr15
                                        ; implicit-def: $sgpr11
                                        ; implicit-def: $sgpr14
	s_cbranch_execnz .LBB1_113
	s_branch .LBB1_117
.LBB1_106:                              ;   in Loop: Header=BB1_6 Depth=1
	s_mov_b32 s10, 5
	s_mov_b32 s9, 7
	;; [unrolled: 1-line block ×7, first 2 shown]
	s_and_b64 vcc, exec, s[4:5]
	s_cbranch_vccnz .LBB1_87
	s_branch .LBB1_88
.LBB1_107:                              ;   in Loop: Header=BB1_6 Depth=1
	s_mov_b64 s[4:5], 0
                                        ; implicit-def: $sgpr8
                                        ; implicit-def: $sgpr12
                                        ; implicit-def: $sgpr9
                                        ; implicit-def: $sgpr13
                                        ; implicit-def: $sgpr10
                                        ; implicit-def: $sgpr15
                                        ; implicit-def: $sgpr11
                                        ; implicit-def: $sgpr14
	s_cbranch_execnz .LBB1_111
	s_branch .LBB1_112
.LBB1_108:                              ;   in Loop: Header=BB1_6 Depth=1
	s_mov_b64 s[4:5], 0
	s_cbranch_execz .LBB1_104
; %bb.109:                              ;   in Loop: Header=BB1_6 Depth=1
	s_mov_b32 s11, 2
	s_mov_b32 s10, 3
	s_mov_b32 s9, 7
	s_mov_b32 s8, 6
	s_mov_b32 s12, s34
	s_mov_b32 s13, s39
	s_mov_b32 s15, s31
	s_mov_b32 s14, s35
.LBB1_110:                              ;   in Loop: Header=BB1_6 Depth=1
	s_branch .LBB1_112
.LBB1_111:                              ;   in Loop: Header=BB1_6 Depth=1
	s_movk_i32 s14, 0xd0
	s_mov_b32 s11, 0
	s_mov_b32 s10, 4
	;; [unrolled: 1-line block ×7, first 2 shown]
.LBB1_112:                              ;   in Loop: Header=BB1_6 Depth=1
	s_branch .LBB1_117
.LBB1_113:                              ;   in Loop: Header=BB1_6 Depth=1
	s_cmp_gt_i32 s18, 0
	s_mov_b64 s[6:7], -1
	s_cbranch_scc0 .LBB1_115
; %bb.114:                              ;   in Loop: Header=BB1_6 Depth=1
	s_mov_b64 s[6:7], 0
.LBB1_115:                              ;   in Loop: Header=BB1_6 Depth=1
	s_andn2_b64 vcc, exec, s[6:7]
	s_mov_b32 s11, 1
	s_cbranch_vccnz .LBB1_127
; %bb.116:                              ;   in Loop: Header=BB1_6 Depth=1
	s_cmp_lg_u32 s18, 0
	s_movk_i32 s14, 0xd0
	s_mov_b32 s10, 2
	s_mov_b32 s9, 6
	;; [unrolled: 1-line block ×3, first 2 shown]
	s_cselect_b64 s[4:5], -1, 0
	s_mov_b32 s12, s38
	s_mov_b32 s13, s34
	;; [unrolled: 1-line block ×4, first 2 shown]
.LBB1_117:                              ;   in Loop: Header=BB1_6 Depth=1
	s_and_b64 vcc, exec, s[4:5]
	s_cbranch_vccz .LBB1_119
.LBB1_118:                              ;   in Loop: Header=BB1_6 Depth=1
	s_mov_b32 s8, 5
	s_mov_b32 s9, 7
	;; [unrolled: 1-line block ×8, first 2 shown]
.LBB1_119:                              ;   in Loop: Header=BB1_6 Depth=1
	v_mov_b32_e32 v16, s14
	v_mov_b32_e32 v17, s15
	buffer_load_dword v8, v16, s[0:3], 0 offen
	buffer_load_dword v9, v16, s[0:3], 0 offen offset:4
	buffer_load_dword v14, v17, s[0:3], 0 offen
	buffer_load_dword v15, v17, s[0:3], 0 offen offset:4
	v_mov_b32_e32 v18, s13
	buffer_load_dword v16, v18, s[0:3], 0 offen
	buffer_load_dword v17, v18, s[0:3], 0 offen offset:4
	v_mov_b32_e32 v20, s12
	buffer_load_dword v18, v20, s[0:3], 0 offen
	buffer_load_dword v19, v20, s[0:3], 0 offen offset:4
	s_waitcnt vmcnt(4)
	v_add_f64 v[14:15], v[8:9], v[14:15]
	v_add_f64 v[8:9], v[8:9], -v[0:1]
	s_waitcnt vmcnt(2)
	v_add_f64 v[14:15], v[14:15], v[16:17]
	s_waitcnt vmcnt(0)
	v_add_f64 v[16:17], v[18:19], -v[0:1]
	v_mul_f64 v[8:9], v[32:33], v[8:9]
	v_add_f64 v[14:15], v[14:15], v[18:19]
	v_mul_f64 v[16:17], v[32:33], v[16:17]
	v_cmp_ngt_f64_e64 s[6:7], 0, v[8:9]
	v_fma_f64 v[14:15], v[14:15], s[20:21], -v[0:1]
	v_cmp_ngt_f64_e32 vcc, 0, v[16:17]
	v_mul_f64 v[14:15], v[32:33], v[14:15]
	v_cmp_ngt_f64_e64 s[4:5], 0, v[14:15]
	s_or_b64 s[4:5], vcc, s[4:5]
	s_or_b64 s[4:5], s[4:5], s[6:7]
	s_and_saveexec_b64 s[22:23], s[4:5]
	s_cbranch_execz .LBB1_5
; %bb.120:                              ;   in Loop: Header=BB1_6 Depth=1
	v_cmp_nle_f64_e32 vcc, 1.0, v[16:17]
	v_cmp_nle_f64_e64 s[4:5], 1.0, v[14:15]
	v_cmp_nle_f64_e64 s[6:7], 1.0, v[8:9]
	s_or_b64 s[4:5], vcc, s[4:5]
	s_or_b64 s[4:5], s[4:5], s[6:7]
	s_and_b64 exec, exec, s[4:5]
	s_cbranch_execz .LBB1_5
; %bb.121:                              ;   in Loop: Header=BB1_6 Depth=1
	s_lshl_b32 s4, s11, 3
	s_add_i32 s11, s4, 0xd0
	s_lshl_b32 s4, s10, 3
	v_mov_b32_e32 v22, s11
	s_add_i32 s10, s4, 0xd0
	v_mov_b32_e32 v23, s10
	buffer_load_dword v18, v22, s[0:3], 0 offen offset:64
	buffer_load_dword v19, v22, s[0:3], 0 offen offset:68
	buffer_load_dword v20, v23, s[0:3], 0 offen offset:64
	buffer_load_dword v21, v23, s[0:3], 0 offen offset:68
	s_lshl_b32 s4, s9, 3
	s_add_i32 s9, s4, 0xd0
	v_mov_b32_e32 v24, s9
	buffer_load_dword v22, v24, s[0:3], 0 offen offset:64
	buffer_load_dword v23, v24, s[0:3], 0 offen offset:68
	s_lshl_b32 s4, s8, 3
	s_add_i32 s8, s4, 0xd0
	v_mov_b32_e32 v26, s8
	buffer_load_dword v24, v26, s[0:3], 0 offen offset:64
	buffer_load_dword v25, v26, s[0:3], 0 offen offset:68
	s_waitcnt vmcnt(4)
	v_add_f64 v[20:21], v[18:19], v[20:21]
	v_add_f64 v[18:19], v[18:19], -v[4:5]
	s_waitcnt vmcnt(2)
	v_add_f64 v[20:21], v[20:21], v[22:23]
	s_waitcnt vmcnt(0)
	v_add_f64 v[22:23], v[24:25], -v[4:5]
	v_mul_f64 v[18:19], v[30:31], v[18:19]
	v_add_f64 v[20:21], v[20:21], v[24:25]
	v_mul_f64 v[22:23], v[30:31], v[22:23]
	v_cmp_ngt_f64_e64 s[6:7], 0, v[18:19]
	v_fma_f64 v[20:21], v[20:21], s[20:21], -v[4:5]
	v_cmp_ngt_f64_e32 vcc, 0, v[22:23]
	v_mul_f64 v[20:21], v[30:31], v[20:21]
	v_cmp_ngt_f64_e64 s[4:5], 0, v[20:21]
	s_or_b64 s[4:5], vcc, s[4:5]
	s_or_b64 s[4:5], s[4:5], s[6:7]
	s_and_b64 exec, exec, s[4:5]
	s_cbranch_execz .LBB1_5
; %bb.122:                              ;   in Loop: Header=BB1_6 Depth=1
	v_cmp_nle_f64_e32 vcc, 1.0, v[22:23]
	v_cmp_nle_f64_e64 s[4:5], 1.0, v[20:21]
	v_cmp_nle_f64_e64 s[6:7], 1.0, v[18:19]
	s_or_b64 s[4:5], vcc, s[4:5]
	s_or_b64 s[4:5], s[4:5], s[6:7]
	s_and_b64 exec, exec, s[4:5]
	s_cbranch_execz .LBB1_5
; %bb.123:                              ;   in Loop: Header=BB1_6 Depth=1
	v_mov_b32_e32 v36, s11
	v_mov_b32_e32 v37, s10
	buffer_load_dword v24, v36, s[0:3], 0 offen offset:128
	buffer_load_dword v25, v36, s[0:3], 0 offen offset:132
	buffer_load_dword v26, v37, s[0:3], 0 offen offset:128
	buffer_load_dword v27, v37, s[0:3], 0 offen offset:132
	v_mov_b32_e32 v40, s9
	buffer_load_dword v36, v40, s[0:3], 0 offen offset:128
	buffer_load_dword v37, v40, s[0:3], 0 offen offset:132
	v_mov_b32_e32 v42, s8
	buffer_load_dword v40, v42, s[0:3], 0 offen offset:128
	buffer_load_dword v41, v42, s[0:3], 0 offen offset:132
	s_waitcnt vmcnt(4)
	v_add_f64 v[26:27], v[24:25], v[26:27]
	v_add_f64 v[24:25], v[24:25], -v[6:7]
	s_waitcnt vmcnt(2)
	v_add_f64 v[26:27], v[26:27], v[36:37]
	s_waitcnt vmcnt(0)
	v_add_f64 v[36:37], v[40:41], -v[6:7]
	v_cmp_ngt_f64_e64 s[6:7], 0, v[24:25]
	v_add_f64 v[26:27], v[26:27], v[40:41]
	v_cmp_ngt_f64_e32 vcc, 0, v[36:37]
	v_fma_f64 v[26:27], v[26:27], s[20:21], -v[6:7]
	v_cmp_ngt_f64_e64 s[4:5], 0, v[26:27]
	s_or_b64 s[4:5], vcc, s[4:5]
	s_or_b64 s[4:5], s[4:5], s[6:7]
	s_and_b64 exec, exec, s[4:5]
	s_cbranch_execz .LBB1_5
; %bb.124:                              ;   in Loop: Header=BB1_6 Depth=1
	v_cmp_le_f64_e32 vcc, 0, v[16:17]
	v_cmp_le_f64_e64 s[4:5], 0, v[14:15]
	v_cmp_le_f64_e64 s[6:7], 0, v[8:9]
	v_cmp_gt_f64_e64 s[8:9], 1.0, v[16:17]
	v_cmp_gt_f64_e64 s[10:11], 1.0, v[14:15]
	;; [unrolled: 1-line block ×3, first 2 shown]
	v_cmp_le_f64_e64 s[14:15], 0, v[22:23]
	v_cmp_le_f64_e64 s[16:17], 0, v[20:21]
	v_mov_b32_e32 v8, 8
	s_and_b64 s[4:5], vcc, s[4:5]
	s_and_b64 s[4:5], s[4:5], s[6:7]
	v_cmp_le_f64_e32 vcc, 0, v[18:19]
	s_and_b64 s[26:27], s[8:9], s[4:5]
	v_cmp_gt_f64_e64 s[4:5], 1.0, v[22:23]
	v_cmp_gt_f64_e64 s[6:7], 1.0, v[20:21]
	;; [unrolled: 1-line block ×3, first 2 shown]
	s_and_b64 s[10:11], s[26:27], s[10:11]
	s_and_b64 s[10:11], s[10:11], s[12:13]
	;; [unrolled: 1-line block ×4, first 2 shown]
	s_and_b64 s[10:11], s[10:11], vcc
	s_and_b64 s[4:5], s[4:5], s[10:11]
	s_and_b64 s[4:5], s[4:5], s[6:7]
	;; [unrolled: 1-line block ×3, first 2 shown]
	s_and_saveexec_b64 s[14:15], s[4:5]
	s_cbranch_execz .LBB1_4
; %bb.125:                              ;   in Loop: Header=BB1_6 Depth=1
	v_cmp_nge_f64_e32 vcc, v[36:37], v[34:35]
	v_cmp_nge_f64_e64 s[4:5], v[26:27], v[34:35]
	v_cmp_nge_f64_e64 s[6:7], v[24:25], v[34:35]
	v_mov_b32_e32 v8, 4
	s_or_b64 s[4:5], vcc, s[4:5]
	s_or_b64 s[4:5], s[4:5], s[6:7]
	s_and_saveexec_b64 s[16:17], s[4:5]
	s_cbranch_execz .LBB1_3
; %bb.126:                              ;   in Loop: Header=BB1_6 Depth=1
	v_cmp_le_f64_e32 vcc, 0, v[36:37]
	v_cmp_le_f64_e64 s[4:5], 0, v[26:27]
	v_cmp_le_f64_e64 s[6:7], 0, v[24:25]
	v_cmp_lt_f64_e64 s[8:9], v[36:37], v[34:35]
	v_cmp_lt_f64_e64 s[10:11], v[26:27], v[34:35]
	;; [unrolled: 1-line block ×3, first 2 shown]
	s_and_b64 s[4:5], vcc, s[4:5]
	s_and_b64 s[4:5], s[4:5], s[6:7]
	s_and_b64 s[4:5], s[8:9], s[4:5]
	;; [unrolled: 1-line block ×3, first 2 shown]
	s_and_b64 vcc, s[4:5], s[12:13]
	v_cndmask_b32_e32 v8, v38, v39, vcc
	s_branch .LBB1_3
.LBB1_127:                              ;   in Loop: Header=BB1_6 Depth=1
	s_mov_b32 s10, 5
	s_mov_b32 s9, 7
	;; [unrolled: 1-line block ×7, first 2 shown]
	s_and_b64 vcc, exec, s[4:5]
	s_cbranch_vccnz .LBB1_118
	s_branch .LBB1_119
.LBB1_128:
	buffer_load_dword v8, off, s[0:3], 0 offset:8
	v_and_b32_e32 v9, 63, v28
	v_mul_u32_u24_e32 v67, 0xf8, v9
	v_mov_b32_e32 v14, 0x100
	s_waitcnt vmcnt(0)
	v_and_b32_e32 v9, 1, v8
	v_cmp_eq_u32_e32 vcc, 1, v9
	v_cndmask_b32_e32 v18, 0, v14, vcc
	v_cmp_eq_u32_e32 vcc, 0, v9
	v_cndmask_b32_e64 v19, 0, 1, vcc
	v_cmp_eq_u32_e32 vcc, 3, v9
	v_cndmask_b32_e32 v20, 0, v14, vcc
	v_cmp_eq_u32_e32 vcc, 2, v9
	v_cndmask_b32_e64 v21, 0, 1, vcc
	;; [unrolled: 4-line block ×11, first 2 shown]
	v_cmp_eq_u32_e32 vcc, 23, v9
	v_cndmask_b32_e32 v14, 0, v14, vcc
	v_cmp_eq_u32_e32 vcc, 22, v9
	v_bfe_u32 v16, v8, 1, 1
	v_cndmask_b32_e64 v48, 0, 1, vcc
	v_and_b32_e32 v15, 2, v8
	v_add_u32_e32 v9, v16, v9
	v_or_b32_e32 v16, v19, v18
	v_or_b32_sdwa v18, v21, v20 dst_sel:WORD_1 dst_unused:UNUSED_PAD src0_sel:DWORD src1_sel:DWORD
	v_or_b32_e32 v19, v23, v22
	v_or_b32_sdwa v20, v25, v24 dst_sel:WORD_1 dst_unused:UNUSED_PAD src0_sel:DWORD src1_sel:DWORD
	;; [unrolled: 2-line block ×6, first 2 shown]
	v_or_b32_sdwa v16, v16, v18 dst_sel:DWORD dst_unused:UNUSED_PAD src0_sel:WORD_0 src1_sel:DWORD
	v_or_b32_sdwa v18, v19, v20 dst_sel:DWORD dst_unused:UNUSED_PAD src0_sel:WORD_0 src1_sel:DWORD
	v_or_b32_sdwa v19, v21, v22 dst_sel:DWORD dst_unused:UNUSED_PAD src0_sel:WORD_0 src1_sel:DWORD
	v_or_b32_sdwa v20, v23, v24 dst_sel:DWORD dst_unused:UNUSED_PAD src0_sel:WORD_0 src1_sel:DWORD
	v_or_b32_sdwa v21, v25, v26 dst_sel:DWORD dst_unused:UNUSED_PAD src0_sel:WORD_0 src1_sel:DWORD
	v_or_b32_sdwa v14, v27, v14 dst_sel:DWORD dst_unused:UNUSED_PAD src0_sel:WORD_0 src1_sel:DWORD
	v_cmp_ne_u32_e32 vcc, 0, v15
	v_cndmask_b32_e32 v14, 0, v14, vcc
	v_cndmask_b32_e32 v15, 0, v21, vcc
	;; [unrolled: 1-line block ×6, first 2 shown]
	v_cmp_ne_u32_e32 vcc, 0, v9
	v_cndmask_b32_e32 v21, 2, v16, vcc
	v_lshrrev_b32_e32 v22, 8, v16
	v_cmp_ne_u32_e32 vcc, 1, v9
	v_cndmask_b32_e32 v22, 2, v22, vcc
	v_lshlrev_b16_e32 v22, 8, v22
	v_or_b32_sdwa v21, v21, v22 dst_sel:DWORD dst_unused:UNUSED_PAD src0_sel:BYTE_0 src1_sel:DWORD
	v_lshrrev_b32_e32 v22, 24, v16
	v_cmp_ne_u32_e32 vcc, 3, v9
	v_cndmask_b32_e32 v22, 2, v22, vcc
	v_lshrrev_b32_e32 v23, 16, v16
	v_cmp_ne_u32_e32 vcc, 2, v9
	v_lshlrev_b16_e32 v22, 8, v22
	v_cndmask_b32_e32 v23, 2, v23, vcc
	v_or_b32_sdwa v22, v23, v22 dst_sel:WORD_1 dst_unused:UNUSED_PAD src0_sel:BYTE_0 src1_sel:DWORD
	v_cmp_ne_u32_e32 vcc, 4, v9
	v_or_b32_sdwa v21, v21, v22 dst_sel:DWORD dst_unused:UNUSED_PAD src0_sel:WORD_0 src1_sel:DWORD
	v_cndmask_b32_e32 v22, 2, v18, vcc
	v_lshrrev_b32_e32 v23, 8, v18
	v_cmp_ne_u32_e32 vcc, 5, v9
	v_cndmask_b32_e32 v23, 2, v23, vcc
	v_lshlrev_b16_e32 v23, 8, v23
	v_or_b32_sdwa v22, v22, v23 dst_sel:DWORD dst_unused:UNUSED_PAD src0_sel:BYTE_0 src1_sel:DWORD
	v_lshrrev_b32_e32 v23, 24, v18
	v_cmp_ne_u32_e32 vcc, 7, v9
	v_cndmask_b32_e32 v23, 2, v23, vcc
	v_lshrrev_b32_e32 v24, 16, v18
	v_cmp_ne_u32_e32 vcc, 6, v9
	v_lshlrev_b16_e32 v23, 8, v23
	v_cndmask_b32_e32 v24, 2, v24, vcc
	v_or_b32_sdwa v23, v24, v23 dst_sel:WORD_1 dst_unused:UNUSED_PAD src0_sel:BYTE_0 src1_sel:DWORD
	v_cmp_ne_u32_e32 vcc, 8, v9
	v_or_b32_sdwa v22, v22, v23 dst_sel:DWORD dst_unused:UNUSED_PAD src0_sel:WORD_0 src1_sel:DWORD
	;; [unrolled: 16-line block ×5, first 2 shown]
	v_cndmask_b32_e32 v26, 2, v14, vcc
	v_lshrrev_b32_e32 v27, 8, v14
	v_cmp_ne_u32_e32 vcc, 21, v9
	v_cndmask_b32_e32 v27, 2, v27, vcc
	v_lshlrev_b16_e32 v27, 8, v27
	v_or_b32_sdwa v26, v26, v27 dst_sel:DWORD dst_unused:UNUSED_PAD src0_sel:BYTE_0 src1_sel:DWORD
	v_lshrrev_b32_e32 v27, 24, v14
	v_cmp_ne_u32_e32 vcc, 23, v9
	v_and_b32_e32 v17, 4, v8
	v_cndmask_b32_e32 v27, 2, v27, vcc
	v_lshrrev_b32_e32 v36, 16, v14
	v_cmp_ne_u32_e32 vcc, 22, v9
	v_lshlrev_b16_e32 v27, 8, v27
	v_cndmask_b32_e32 v36, 2, v36, vcc
	v_cmp_eq_u32_e32 vcc, 0, v17
	v_or_b32_sdwa v27, v36, v27 dst_sel:WORD_1 dst_unused:UNUSED_PAD src0_sel:BYTE_0 src1_sel:DWORD
	v_cndmask_b32_e32 v17, v24, v20, vcc
	v_bfe_u32 v20, v8, 2, 1
	v_or_b32_sdwa v26, v26, v27 dst_sel:DWORD dst_unused:UNUSED_PAD src0_sel:WORD_0 src1_sel:DWORD
	v_add_u32_e32 v9, v9, v20
	v_cndmask_b32_e32 v14, v26, v14, vcc
	v_cndmask_b32_e32 v15, v25, v15, vcc
	;; [unrolled: 1-line block ×5, first 2 shown]
	v_cmp_ne_u32_e32 vcc, 0, v9
	v_cndmask_b32_e32 v21, 3, v16, vcc
	v_lshrrev_b32_e32 v22, 8, v16
	v_cmp_ne_u32_e32 vcc, 1, v9
	v_cndmask_b32_e32 v22, 3, v22, vcc
	v_lshlrev_b16_e32 v22, 8, v22
	v_or_b32_sdwa v21, v21, v22 dst_sel:DWORD dst_unused:UNUSED_PAD src0_sel:BYTE_0 src1_sel:DWORD
	v_lshrrev_b32_e32 v22, 24, v16
	v_cmp_ne_u32_e32 vcc, 3, v9
	v_cndmask_b32_e32 v22, 3, v22, vcc
	v_lshrrev_b32_e32 v23, 16, v16
	v_cmp_ne_u32_e32 vcc, 2, v9
	v_lshlrev_b16_e32 v22, 8, v22
	v_cndmask_b32_e32 v23, 3, v23, vcc
	v_or_b32_sdwa v22, v23, v22 dst_sel:WORD_1 dst_unused:UNUSED_PAD src0_sel:BYTE_0 src1_sel:DWORD
	v_cmp_ne_u32_e32 vcc, 4, v9
	v_or_b32_sdwa v21, v21, v22 dst_sel:DWORD dst_unused:UNUSED_PAD src0_sel:WORD_0 src1_sel:DWORD
	v_cndmask_b32_e32 v22, 3, v18, vcc
	v_lshrrev_b32_e32 v23, 8, v18
	v_cmp_ne_u32_e32 vcc, 5, v9
	v_cndmask_b32_e32 v23, 3, v23, vcc
	v_lshlrev_b16_e32 v23, 8, v23
	v_or_b32_sdwa v22, v22, v23 dst_sel:DWORD dst_unused:UNUSED_PAD src0_sel:BYTE_0 src1_sel:DWORD
	v_lshrrev_b32_e32 v23, 24, v18
	v_cmp_ne_u32_e32 vcc, 7, v9
	v_cndmask_b32_e32 v23, 3, v23, vcc
	v_lshrrev_b32_e32 v24, 16, v18
	v_cmp_ne_u32_e32 vcc, 6, v9
	v_lshlrev_b16_e32 v23, 8, v23
	v_cndmask_b32_e32 v24, 3, v24, vcc
	v_or_b32_sdwa v23, v24, v23 dst_sel:WORD_1 dst_unused:UNUSED_PAD src0_sel:BYTE_0 src1_sel:DWORD
	v_cmp_ne_u32_e32 vcc, 8, v9
	v_or_b32_sdwa v22, v22, v23 dst_sel:DWORD dst_unused:UNUSED_PAD src0_sel:WORD_0 src1_sel:DWORD
	;; [unrolled: 16-line block ×5, first 2 shown]
	v_cndmask_b32_e32 v26, 3, v14, vcc
	v_lshrrev_b32_e32 v27, 8, v14
	v_cmp_ne_u32_e32 vcc, 21, v9
	v_cndmask_b32_e32 v27, 3, v27, vcc
	v_lshlrev_b16_e32 v27, 8, v27
	v_or_b32_sdwa v26, v26, v27 dst_sel:DWORD dst_unused:UNUSED_PAD src0_sel:BYTE_0 src1_sel:DWORD
	v_lshrrev_b32_e32 v27, 24, v14
	v_cmp_ne_u32_e32 vcc, 23, v9
	v_cndmask_b32_e32 v27, 3, v27, vcc
	v_lshrrev_b32_e32 v36, 16, v14
	v_cmp_ne_u32_e32 vcc, 22, v9
	v_and_b32_e32 v20, 8, v8
	v_lshlrev_b16_e32 v27, 8, v27
	v_cndmask_b32_e32 v36, 3, v36, vcc
	v_or_b32_sdwa v27, v36, v27 dst_sel:WORD_1 dst_unused:UNUSED_PAD src0_sel:BYTE_0 src1_sel:DWORD
	v_cmp_eq_u32_e32 vcc, 0, v20
	v_bfe_u32 v20, v8, 3, 1
	v_or_b32_sdwa v26, v26, v27 dst_sel:DWORD dst_unused:UNUSED_PAD src0_sel:WORD_0 src1_sel:DWORD
	v_add_u32_e32 v9, v9, v20
	v_cndmask_b32_e32 v14, v26, v14, vcc
	v_cndmask_b32_e32 v15, v25, v15, vcc
	v_cndmask_b32_e32 v17, v24, v17, vcc
	v_cndmask_b32_e32 v19, v23, v19, vcc
	v_cndmask_b32_e32 v18, v22, v18, vcc
	v_cndmask_b32_e32 v16, v21, v16, vcc
	v_cmp_ne_u32_e32 vcc, 0, v9
	v_cndmask_b32_e32 v21, 4, v16, vcc
	v_lshrrev_b32_e32 v22, 8, v16
	v_cmp_ne_u32_e32 vcc, 1, v9
	v_cndmask_b32_e32 v22, 4, v22, vcc
	v_lshlrev_b16_e32 v22, 8, v22
	v_or_b32_sdwa v21, v21, v22 dst_sel:DWORD dst_unused:UNUSED_PAD src0_sel:BYTE_0 src1_sel:DWORD
	v_lshrrev_b32_e32 v22, 24, v16
	v_cmp_ne_u32_e32 vcc, 3, v9
	v_cndmask_b32_e32 v22, 4, v22, vcc
	v_lshrrev_b32_e32 v23, 16, v16
	v_cmp_ne_u32_e32 vcc, 2, v9
	v_lshlrev_b16_e32 v22, 8, v22
	v_cndmask_b32_e32 v23, 4, v23, vcc
	v_or_b32_sdwa v22, v23, v22 dst_sel:WORD_1 dst_unused:UNUSED_PAD src0_sel:BYTE_0 src1_sel:DWORD
	v_cmp_ne_u32_e32 vcc, 4, v9
	v_or_b32_sdwa v21, v21, v22 dst_sel:DWORD dst_unused:UNUSED_PAD src0_sel:WORD_0 src1_sel:DWORD
	v_cndmask_b32_e32 v22, 4, v18, vcc
	v_lshrrev_b32_e32 v23, 8, v18
	v_cmp_ne_u32_e32 vcc, 5, v9
	v_cndmask_b32_e32 v23, 4, v23, vcc
	v_lshlrev_b16_e32 v23, 8, v23
	v_or_b32_sdwa v22, v22, v23 dst_sel:DWORD dst_unused:UNUSED_PAD src0_sel:BYTE_0 src1_sel:DWORD
	v_lshrrev_b32_e32 v23, 24, v18
	v_cmp_ne_u32_e32 vcc, 7, v9
	v_cndmask_b32_e32 v23, 4, v23, vcc
	v_lshrrev_b32_e32 v24, 16, v18
	v_cmp_ne_u32_e32 vcc, 6, v9
	v_lshlrev_b16_e32 v23, 8, v23
	v_cndmask_b32_e32 v24, 4, v24, vcc
	v_or_b32_sdwa v23, v24, v23 dst_sel:WORD_1 dst_unused:UNUSED_PAD src0_sel:BYTE_0 src1_sel:DWORD
	v_cmp_ne_u32_e32 vcc, 8, v9
	v_or_b32_sdwa v22, v22, v23 dst_sel:DWORD dst_unused:UNUSED_PAD src0_sel:WORD_0 src1_sel:DWORD
	;; [unrolled: 16-line block ×5, first 2 shown]
	v_cndmask_b32_e32 v26, 4, v14, vcc
	v_lshrrev_b32_e32 v27, 8, v14
	v_cmp_ne_u32_e32 vcc, 21, v9
	v_cndmask_b32_e32 v27, 4, v27, vcc
	v_lshlrev_b16_e32 v27, 8, v27
	v_or_b32_sdwa v26, v26, v27 dst_sel:DWORD dst_unused:UNUSED_PAD src0_sel:BYTE_0 src1_sel:DWORD
	v_lshrrev_b32_e32 v27, 24, v14
	v_cmp_ne_u32_e32 vcc, 23, v9
	v_cndmask_b32_e32 v27, 4, v27, vcc
	v_lshrrev_b32_e32 v36, 16, v14
	v_cmp_ne_u32_e32 vcc, 22, v9
	v_and_b32_e32 v20, 16, v8
	v_lshlrev_b16_e32 v27, 8, v27
	v_cndmask_b32_e32 v36, 4, v36, vcc
	v_or_b32_sdwa v27, v36, v27 dst_sel:WORD_1 dst_unused:UNUSED_PAD src0_sel:BYTE_0 src1_sel:DWORD
	v_cmp_eq_u32_e32 vcc, 0, v20
	v_bfe_u32 v20, v8, 4, 1
	v_or_b32_sdwa v26, v26, v27 dst_sel:DWORD dst_unused:UNUSED_PAD src0_sel:WORD_0 src1_sel:DWORD
	v_add_u32_e32 v9, v9, v20
	v_cndmask_b32_e32 v14, v26, v14, vcc
	v_cndmask_b32_e32 v15, v25, v15, vcc
	;; [unrolled: 1-line block ×6, first 2 shown]
	v_cmp_ne_u32_e32 vcc, 0, v9
	v_cndmask_b32_e32 v21, 5, v16, vcc
	v_lshrrev_b32_e32 v22, 8, v16
	v_cmp_ne_u32_e32 vcc, 1, v9
	v_cndmask_b32_e32 v22, 5, v22, vcc
	v_lshlrev_b16_e32 v22, 8, v22
	v_or_b32_sdwa v21, v21, v22 dst_sel:DWORD dst_unused:UNUSED_PAD src0_sel:BYTE_0 src1_sel:DWORD
	v_lshrrev_b32_e32 v22, 24, v16
	v_cmp_ne_u32_e32 vcc, 3, v9
	v_cndmask_b32_e32 v22, 5, v22, vcc
	v_lshrrev_b32_e32 v23, 16, v16
	v_cmp_ne_u32_e32 vcc, 2, v9
	v_lshlrev_b16_e32 v22, 8, v22
	v_cndmask_b32_e32 v23, 5, v23, vcc
	v_or_b32_sdwa v22, v23, v22 dst_sel:WORD_1 dst_unused:UNUSED_PAD src0_sel:BYTE_0 src1_sel:DWORD
	v_cmp_ne_u32_e32 vcc, 4, v9
	v_or_b32_sdwa v21, v21, v22 dst_sel:DWORD dst_unused:UNUSED_PAD src0_sel:WORD_0 src1_sel:DWORD
	v_cndmask_b32_e32 v22, 5, v18, vcc
	v_lshrrev_b32_e32 v23, 8, v18
	v_cmp_ne_u32_e32 vcc, 5, v9
	v_cndmask_b32_e32 v23, 5, v23, vcc
	v_lshlrev_b16_e32 v23, 8, v23
	v_or_b32_sdwa v22, v22, v23 dst_sel:DWORD dst_unused:UNUSED_PAD src0_sel:BYTE_0 src1_sel:DWORD
	v_lshrrev_b32_e32 v23, 24, v18
	v_cmp_ne_u32_e32 vcc, 7, v9
	v_cndmask_b32_e32 v23, 5, v23, vcc
	v_lshrrev_b32_e32 v24, 16, v18
	v_cmp_ne_u32_e32 vcc, 6, v9
	v_lshlrev_b16_e32 v23, 8, v23
	v_cndmask_b32_e32 v24, 5, v24, vcc
	v_or_b32_sdwa v23, v24, v23 dst_sel:WORD_1 dst_unused:UNUSED_PAD src0_sel:BYTE_0 src1_sel:DWORD
	v_cmp_ne_u32_e32 vcc, 8, v9
	v_or_b32_sdwa v22, v22, v23 dst_sel:DWORD dst_unused:UNUSED_PAD src0_sel:WORD_0 src1_sel:DWORD
	;; [unrolled: 16-line block ×5, first 2 shown]
	v_cndmask_b32_e32 v26, 5, v14, vcc
	v_lshrrev_b32_e32 v27, 8, v14
	v_cmp_ne_u32_e32 vcc, 21, v9
	v_cndmask_b32_e32 v27, 5, v27, vcc
	v_lshlrev_b16_e32 v27, 8, v27
	v_or_b32_sdwa v26, v26, v27 dst_sel:DWORD dst_unused:UNUSED_PAD src0_sel:BYTE_0 src1_sel:DWORD
	v_lshrrev_b32_e32 v27, 24, v14
	v_cmp_ne_u32_e32 vcc, 23, v9
	v_cndmask_b32_e32 v27, 5, v27, vcc
	v_lshrrev_b32_e32 v36, 16, v14
	v_cmp_ne_u32_e32 vcc, 22, v9
	v_and_b32_e32 v20, 32, v8
	v_lshlrev_b16_e32 v27, 8, v27
	v_cndmask_b32_e32 v36, 5, v36, vcc
	v_or_b32_sdwa v27, v36, v27 dst_sel:WORD_1 dst_unused:UNUSED_PAD src0_sel:BYTE_0 src1_sel:DWORD
	v_cmp_eq_u32_e32 vcc, 0, v20
	v_bfe_u32 v20, v8, 5, 1
	v_or_b32_sdwa v26, v26, v27 dst_sel:DWORD dst_unused:UNUSED_PAD src0_sel:WORD_0 src1_sel:DWORD
	v_add_u32_e32 v9, v9, v20
	v_cndmask_b32_e32 v14, v26, v14, vcc
	v_cndmask_b32_e32 v15, v25, v15, vcc
	v_cndmask_b32_e32 v17, v24, v17, vcc
	v_cndmask_b32_e32 v19, v23, v19, vcc
	v_cndmask_b32_e32 v18, v22, v18, vcc
	v_cndmask_b32_e32 v16, v21, v16, vcc
	v_cmp_ne_u32_e32 vcc, 0, v9
	v_cndmask_b32_e32 v21, 6, v16, vcc
	v_lshrrev_b32_e32 v22, 8, v16
	v_cmp_ne_u32_e32 vcc, 1, v9
	v_cndmask_b32_e32 v22, 6, v22, vcc
	v_lshlrev_b16_e32 v22, 8, v22
	v_or_b32_sdwa v21, v21, v22 dst_sel:DWORD dst_unused:UNUSED_PAD src0_sel:BYTE_0 src1_sel:DWORD
	v_lshrrev_b32_e32 v22, 24, v16
	v_cmp_ne_u32_e32 vcc, 3, v9
	v_cndmask_b32_e32 v22, 6, v22, vcc
	v_lshrrev_b32_e32 v23, 16, v16
	v_cmp_ne_u32_e32 vcc, 2, v9
	v_lshlrev_b16_e32 v22, 8, v22
	v_cndmask_b32_e32 v23, 6, v23, vcc
	v_or_b32_sdwa v22, v23, v22 dst_sel:WORD_1 dst_unused:UNUSED_PAD src0_sel:BYTE_0 src1_sel:DWORD
	v_cmp_ne_u32_e32 vcc, 4, v9
	v_or_b32_sdwa v21, v21, v22 dst_sel:DWORD dst_unused:UNUSED_PAD src0_sel:WORD_0 src1_sel:DWORD
	v_cndmask_b32_e32 v22, 6, v18, vcc
	v_lshrrev_b32_e32 v23, 8, v18
	v_cmp_ne_u32_e32 vcc, 5, v9
	v_cndmask_b32_e32 v23, 6, v23, vcc
	v_lshlrev_b16_e32 v23, 8, v23
	v_or_b32_sdwa v22, v22, v23 dst_sel:DWORD dst_unused:UNUSED_PAD src0_sel:BYTE_0 src1_sel:DWORD
	v_lshrrev_b32_e32 v23, 24, v18
	v_cmp_ne_u32_e32 vcc, 7, v9
	v_cndmask_b32_e32 v23, 6, v23, vcc
	v_lshrrev_b32_e32 v24, 16, v18
	v_cmp_ne_u32_e32 vcc, 6, v9
	v_lshlrev_b16_e32 v23, 8, v23
	v_cndmask_b32_e32 v24, 6, v24, vcc
	v_or_b32_sdwa v23, v24, v23 dst_sel:WORD_1 dst_unused:UNUSED_PAD src0_sel:BYTE_0 src1_sel:DWORD
	v_cmp_ne_u32_e32 vcc, 8, v9
	v_or_b32_sdwa v22, v22, v23 dst_sel:DWORD dst_unused:UNUSED_PAD src0_sel:WORD_0 src1_sel:DWORD
	;; [unrolled: 16-line block ×5, first 2 shown]
	v_cndmask_b32_e32 v26, 6, v14, vcc
	v_lshrrev_b32_e32 v27, 8, v14
	v_cmp_ne_u32_e32 vcc, 21, v9
	v_cndmask_b32_e32 v27, 6, v27, vcc
	v_lshlrev_b16_e32 v27, 8, v27
	v_or_b32_sdwa v26, v26, v27 dst_sel:DWORD dst_unused:UNUSED_PAD src0_sel:BYTE_0 src1_sel:DWORD
	v_lshrrev_b32_e32 v27, 24, v14
	v_cmp_ne_u32_e32 vcc, 23, v9
	v_cndmask_b32_e32 v27, 6, v27, vcc
	v_lshrrev_b32_e32 v36, 16, v14
	v_cmp_ne_u32_e32 vcc, 22, v9
	v_and_b32_e32 v20, 64, v8
	v_lshlrev_b16_e32 v27, 8, v27
	v_cndmask_b32_e32 v36, 6, v36, vcc
	v_or_b32_sdwa v27, v36, v27 dst_sel:WORD_1 dst_unused:UNUSED_PAD src0_sel:BYTE_0 src1_sel:DWORD
	v_cmp_eq_u32_e32 vcc, 0, v20
	v_bfe_u32 v20, v8, 6, 1
	v_or_b32_sdwa v26, v26, v27 dst_sel:DWORD dst_unused:UNUSED_PAD src0_sel:WORD_0 src1_sel:DWORD
	v_add_u32_e32 v9, v9, v20
	v_cndmask_b32_e32 v14, v26, v14, vcc
	v_cndmask_b32_e32 v15, v25, v15, vcc
	;; [unrolled: 1-line block ×6, first 2 shown]
	v_cmp_ne_u32_e32 vcc, 0, v9
	v_cndmask_b32_e32 v21, 7, v16, vcc
	v_lshrrev_b32_e32 v22, 8, v16
	v_cmp_ne_u32_e32 vcc, 1, v9
	v_cndmask_b32_e32 v22, 7, v22, vcc
	v_lshlrev_b16_e32 v22, 8, v22
	v_or_b32_sdwa v21, v21, v22 dst_sel:DWORD dst_unused:UNUSED_PAD src0_sel:BYTE_0 src1_sel:DWORD
	v_lshrrev_b32_e32 v22, 24, v16
	v_cmp_ne_u32_e32 vcc, 3, v9
	v_cndmask_b32_e32 v22, 7, v22, vcc
	v_lshrrev_b32_e32 v23, 16, v16
	v_cmp_ne_u32_e32 vcc, 2, v9
	v_lshlrev_b16_e32 v22, 8, v22
	v_cndmask_b32_e32 v23, 7, v23, vcc
	v_or_b32_sdwa v22, v23, v22 dst_sel:WORD_1 dst_unused:UNUSED_PAD src0_sel:BYTE_0 src1_sel:DWORD
	v_cmp_ne_u32_e32 vcc, 4, v9
	v_or_b32_sdwa v21, v21, v22 dst_sel:DWORD dst_unused:UNUSED_PAD src0_sel:WORD_0 src1_sel:DWORD
	v_cndmask_b32_e32 v22, 7, v18, vcc
	v_lshrrev_b32_e32 v23, 8, v18
	v_cmp_ne_u32_e32 vcc, 5, v9
	v_cndmask_b32_e32 v23, 7, v23, vcc
	v_lshlrev_b16_e32 v23, 8, v23
	v_or_b32_sdwa v22, v22, v23 dst_sel:DWORD dst_unused:UNUSED_PAD src0_sel:BYTE_0 src1_sel:DWORD
	v_lshrrev_b32_e32 v23, 24, v18
	v_cmp_ne_u32_e32 vcc, 7, v9
	v_cndmask_b32_e32 v23, 7, v23, vcc
	v_lshrrev_b32_e32 v24, 16, v18
	v_cmp_ne_u32_e32 vcc, 6, v9
	v_lshlrev_b16_e32 v23, 8, v23
	v_cndmask_b32_e32 v24, 7, v24, vcc
	v_or_b32_sdwa v23, v24, v23 dst_sel:WORD_1 dst_unused:UNUSED_PAD src0_sel:BYTE_0 src1_sel:DWORD
	v_cmp_ne_u32_e32 vcc, 8, v9
	v_or_b32_sdwa v22, v22, v23 dst_sel:DWORD dst_unused:UNUSED_PAD src0_sel:WORD_0 src1_sel:DWORD
	;; [unrolled: 16-line block ×5, first 2 shown]
	v_cndmask_b32_e32 v26, 7, v14, vcc
	v_lshrrev_b32_e32 v27, 8, v14
	v_cmp_ne_u32_e32 vcc, 21, v9
	v_cndmask_b32_e32 v27, 7, v27, vcc
	v_lshlrev_b16_e32 v27, 8, v27
	v_or_b32_sdwa v26, v26, v27 dst_sel:DWORD dst_unused:UNUSED_PAD src0_sel:BYTE_0 src1_sel:DWORD
	v_lshrrev_b32_e32 v27, 24, v14
	v_cmp_ne_u32_e32 vcc, 23, v9
	v_cndmask_b32_e32 v27, 7, v27, vcc
	v_lshrrev_b32_e32 v36, 16, v14
	v_cmp_ne_u32_e32 vcc, 22, v9
	v_and_b32_e32 v20, 0x80, v8
	v_lshlrev_b16_e32 v27, 8, v27
	v_cndmask_b32_e32 v36, 7, v36, vcc
	v_or_b32_sdwa v27, v36, v27 dst_sel:WORD_1 dst_unused:UNUSED_PAD src0_sel:BYTE_0 src1_sel:DWORD
	v_cmp_eq_u32_e32 vcc, 0, v20
	v_bfe_u32 v20, v8, 7, 1
	v_or_b32_sdwa v26, v26, v27 dst_sel:DWORD dst_unused:UNUSED_PAD src0_sel:WORD_0 src1_sel:DWORD
	v_add_u32_e32 v9, v9, v20
	v_cndmask_b32_e32 v14, v26, v14, vcc
	v_cndmask_b32_e32 v15, v25, v15, vcc
	;; [unrolled: 1-line block ×6, first 2 shown]
	v_cmp_ne_u32_e32 vcc, 0, v9
	v_cndmask_b32_e32 v21, 8, v16, vcc
	v_lshrrev_b32_e32 v22, 8, v16
	v_cmp_ne_u32_e32 vcc, 1, v9
	v_cndmask_b32_e32 v22, 8, v22, vcc
	v_lshlrev_b16_e32 v22, 8, v22
	v_or_b32_sdwa v21, v21, v22 dst_sel:DWORD dst_unused:UNUSED_PAD src0_sel:BYTE_0 src1_sel:DWORD
	v_lshrrev_b32_e32 v22, 24, v16
	v_cmp_ne_u32_e32 vcc, 3, v9
	v_cndmask_b32_e32 v22, 8, v22, vcc
	v_lshrrev_b32_e32 v23, 16, v16
	v_cmp_ne_u32_e32 vcc, 2, v9
	v_lshlrev_b16_e32 v22, 8, v22
	v_cndmask_b32_e32 v23, 8, v23, vcc
	v_or_b32_sdwa v22, v23, v22 dst_sel:WORD_1 dst_unused:UNUSED_PAD src0_sel:BYTE_0 src1_sel:DWORD
	v_cmp_ne_u32_e32 vcc, 4, v9
	v_or_b32_sdwa v21, v21, v22 dst_sel:DWORD dst_unused:UNUSED_PAD src0_sel:WORD_0 src1_sel:DWORD
	v_cndmask_b32_e32 v22, 8, v18, vcc
	v_lshrrev_b32_e32 v23, 8, v18
	v_cmp_ne_u32_e32 vcc, 5, v9
	v_cndmask_b32_e32 v23, 8, v23, vcc
	v_lshlrev_b16_e32 v23, 8, v23
	v_or_b32_sdwa v22, v22, v23 dst_sel:DWORD dst_unused:UNUSED_PAD src0_sel:BYTE_0 src1_sel:DWORD
	v_lshrrev_b32_e32 v23, 24, v18
	v_cmp_ne_u32_e32 vcc, 7, v9
	v_cndmask_b32_e32 v23, 8, v23, vcc
	v_lshrrev_b32_e32 v24, 16, v18
	v_cmp_ne_u32_e32 vcc, 6, v9
	v_lshlrev_b16_e32 v23, 8, v23
	v_cndmask_b32_e32 v24, 8, v24, vcc
	v_or_b32_sdwa v23, v24, v23 dst_sel:WORD_1 dst_unused:UNUSED_PAD src0_sel:BYTE_0 src1_sel:DWORD
	v_cmp_ne_u32_e32 vcc, 8, v9
	v_or_b32_sdwa v22, v22, v23 dst_sel:DWORD dst_unused:UNUSED_PAD src0_sel:WORD_0 src1_sel:DWORD
	;; [unrolled: 16-line block ×5, first 2 shown]
	v_cndmask_b32_e32 v26, 8, v14, vcc
	v_lshrrev_b32_e32 v27, 8, v14
	v_cmp_ne_u32_e32 vcc, 21, v9
	v_cndmask_b32_e32 v27, 8, v27, vcc
	v_lshlrev_b16_e32 v27, 8, v27
	v_or_b32_sdwa v26, v26, v27 dst_sel:DWORD dst_unused:UNUSED_PAD src0_sel:BYTE_0 src1_sel:DWORD
	v_lshrrev_b32_e32 v27, 24, v14
	v_cmp_ne_u32_e32 vcc, 23, v9
	v_cndmask_b32_e32 v27, 8, v27, vcc
	v_lshrrev_b32_e32 v36, 16, v14
	v_cmp_ne_u32_e32 vcc, 22, v9
	v_and_b32_e32 v20, 0x100, v8
	v_lshlrev_b16_e32 v27, 8, v27
	v_cndmask_b32_e32 v36, 8, v36, vcc
	v_or_b32_sdwa v27, v36, v27 dst_sel:WORD_1 dst_unused:UNUSED_PAD src0_sel:BYTE_0 src1_sel:DWORD
	v_cmp_eq_u32_e32 vcc, 0, v20
	v_bfe_u32 v20, v8, 8, 1
	v_or_b32_sdwa v26, v26, v27 dst_sel:DWORD dst_unused:UNUSED_PAD src0_sel:WORD_0 src1_sel:DWORD
	v_add_u32_e32 v9, v9, v20
	v_cndmask_b32_e32 v14, v26, v14, vcc
	v_cndmask_b32_e32 v15, v25, v15, vcc
	;; [unrolled: 1-line block ×6, first 2 shown]
	v_cmp_ne_u32_e32 vcc, 0, v9
	v_cndmask_b32_e32 v21, 9, v16, vcc
	v_lshrrev_b32_e32 v22, 8, v16
	v_cmp_ne_u32_e32 vcc, 1, v9
	v_cndmask_b32_e32 v22, 9, v22, vcc
	v_lshlrev_b16_e32 v22, 8, v22
	v_or_b32_sdwa v21, v21, v22 dst_sel:DWORD dst_unused:UNUSED_PAD src0_sel:BYTE_0 src1_sel:DWORD
	v_lshrrev_b32_e32 v22, 24, v16
	v_cmp_ne_u32_e32 vcc, 3, v9
	v_cndmask_b32_e32 v22, 9, v22, vcc
	v_lshrrev_b32_e32 v23, 16, v16
	v_cmp_ne_u32_e32 vcc, 2, v9
	v_lshlrev_b16_e32 v22, 8, v22
	v_cndmask_b32_e32 v23, 9, v23, vcc
	v_or_b32_sdwa v22, v23, v22 dst_sel:WORD_1 dst_unused:UNUSED_PAD src0_sel:BYTE_0 src1_sel:DWORD
	v_cmp_ne_u32_e32 vcc, 4, v9
	v_or_b32_sdwa v21, v21, v22 dst_sel:DWORD dst_unused:UNUSED_PAD src0_sel:WORD_0 src1_sel:DWORD
	v_cndmask_b32_e32 v22, 9, v18, vcc
	v_lshrrev_b32_e32 v23, 8, v18
	v_cmp_ne_u32_e32 vcc, 5, v9
	v_cndmask_b32_e32 v23, 9, v23, vcc
	v_lshlrev_b16_e32 v23, 8, v23
	v_or_b32_sdwa v22, v22, v23 dst_sel:DWORD dst_unused:UNUSED_PAD src0_sel:BYTE_0 src1_sel:DWORD
	v_lshrrev_b32_e32 v23, 24, v18
	v_cmp_ne_u32_e32 vcc, 7, v9
	v_cndmask_b32_e32 v23, 9, v23, vcc
	v_lshrrev_b32_e32 v24, 16, v18
	v_cmp_ne_u32_e32 vcc, 6, v9
	v_lshlrev_b16_e32 v23, 8, v23
	v_cndmask_b32_e32 v24, 9, v24, vcc
	v_or_b32_sdwa v23, v24, v23 dst_sel:WORD_1 dst_unused:UNUSED_PAD src0_sel:BYTE_0 src1_sel:DWORD
	v_cmp_ne_u32_e32 vcc, 8, v9
	v_or_b32_sdwa v22, v22, v23 dst_sel:DWORD dst_unused:UNUSED_PAD src0_sel:WORD_0 src1_sel:DWORD
	;; [unrolled: 16-line block ×5, first 2 shown]
	v_cndmask_b32_e32 v26, 9, v14, vcc
	v_lshrrev_b32_e32 v27, 8, v14
	v_cmp_ne_u32_e32 vcc, 21, v9
	v_cndmask_b32_e32 v27, 9, v27, vcc
	v_lshlrev_b16_e32 v27, 8, v27
	v_or_b32_sdwa v26, v26, v27 dst_sel:DWORD dst_unused:UNUSED_PAD src0_sel:BYTE_0 src1_sel:DWORD
	v_lshrrev_b32_e32 v27, 24, v14
	v_cmp_ne_u32_e32 vcc, 23, v9
	v_cndmask_b32_e32 v27, 9, v27, vcc
	v_lshrrev_b32_e32 v36, 16, v14
	v_cmp_ne_u32_e32 vcc, 22, v9
	v_and_b32_e32 v20, 0x200, v8
	v_lshlrev_b16_e32 v27, 8, v27
	v_cndmask_b32_e32 v36, 9, v36, vcc
	v_or_b32_sdwa v27, v36, v27 dst_sel:WORD_1 dst_unused:UNUSED_PAD src0_sel:BYTE_0 src1_sel:DWORD
	v_cmp_eq_u32_e32 vcc, 0, v20
	v_bfe_u32 v20, v8, 9, 1
	v_or_b32_sdwa v26, v26, v27 dst_sel:DWORD dst_unused:UNUSED_PAD src0_sel:WORD_0 src1_sel:DWORD
	v_add_u32_e32 v9, v9, v20
	v_cndmask_b32_e32 v14, v26, v14, vcc
	v_cndmask_b32_e32 v15, v25, v15, vcc
	;; [unrolled: 1-line block ×6, first 2 shown]
	v_cmp_ne_u32_e32 vcc, 0, v9
	v_cndmask_b32_e32 v21, 10, v16, vcc
	v_lshrrev_b32_e32 v22, 8, v16
	v_cmp_ne_u32_e32 vcc, 1, v9
	v_cndmask_b32_e32 v22, 10, v22, vcc
	v_lshlrev_b16_e32 v22, 8, v22
	v_or_b32_sdwa v21, v21, v22 dst_sel:DWORD dst_unused:UNUSED_PAD src0_sel:BYTE_0 src1_sel:DWORD
	v_lshrrev_b32_e32 v22, 24, v16
	v_cmp_ne_u32_e32 vcc, 3, v9
	v_cndmask_b32_e32 v22, 10, v22, vcc
	v_lshrrev_b32_e32 v23, 16, v16
	v_cmp_ne_u32_e32 vcc, 2, v9
	v_lshlrev_b16_e32 v22, 8, v22
	v_cndmask_b32_e32 v23, 10, v23, vcc
	v_or_b32_sdwa v22, v23, v22 dst_sel:WORD_1 dst_unused:UNUSED_PAD src0_sel:BYTE_0 src1_sel:DWORD
	v_cmp_ne_u32_e32 vcc, 4, v9
	v_or_b32_sdwa v21, v21, v22 dst_sel:DWORD dst_unused:UNUSED_PAD src0_sel:WORD_0 src1_sel:DWORD
	v_cndmask_b32_e32 v22, 10, v18, vcc
	v_lshrrev_b32_e32 v23, 8, v18
	v_cmp_ne_u32_e32 vcc, 5, v9
	v_cndmask_b32_e32 v23, 10, v23, vcc
	v_lshlrev_b16_e32 v23, 8, v23
	v_or_b32_sdwa v22, v22, v23 dst_sel:DWORD dst_unused:UNUSED_PAD src0_sel:BYTE_0 src1_sel:DWORD
	v_lshrrev_b32_e32 v23, 24, v18
	v_cmp_ne_u32_e32 vcc, 7, v9
	v_cndmask_b32_e32 v23, 10, v23, vcc
	v_lshrrev_b32_e32 v24, 16, v18
	v_cmp_ne_u32_e32 vcc, 6, v9
	v_lshlrev_b16_e32 v23, 8, v23
	v_cndmask_b32_e32 v24, 10, v24, vcc
	v_or_b32_sdwa v23, v24, v23 dst_sel:WORD_1 dst_unused:UNUSED_PAD src0_sel:BYTE_0 src1_sel:DWORD
	v_cmp_ne_u32_e32 vcc, 8, v9
	v_or_b32_sdwa v22, v22, v23 dst_sel:DWORD dst_unused:UNUSED_PAD src0_sel:WORD_0 src1_sel:DWORD
	;; [unrolled: 16-line block ×5, first 2 shown]
	v_cndmask_b32_e32 v26, 10, v14, vcc
	v_lshrrev_b32_e32 v27, 8, v14
	v_cmp_ne_u32_e32 vcc, 21, v9
	v_cndmask_b32_e32 v27, 10, v27, vcc
	v_lshlrev_b16_e32 v27, 8, v27
	v_or_b32_sdwa v26, v26, v27 dst_sel:DWORD dst_unused:UNUSED_PAD src0_sel:BYTE_0 src1_sel:DWORD
	v_lshrrev_b32_e32 v27, 24, v14
	v_cmp_ne_u32_e32 vcc, 23, v9
	v_cndmask_b32_e32 v27, 10, v27, vcc
	v_lshrrev_b32_e32 v36, 16, v14
	v_cmp_ne_u32_e32 vcc, 22, v9
	v_and_b32_e32 v20, 0x400, v8
	v_lshlrev_b16_e32 v27, 8, v27
	v_cndmask_b32_e32 v36, 10, v36, vcc
	v_or_b32_sdwa v27, v36, v27 dst_sel:WORD_1 dst_unused:UNUSED_PAD src0_sel:BYTE_0 src1_sel:DWORD
	v_cmp_eq_u32_e32 vcc, 0, v20
	v_bfe_u32 v20, v8, 10, 1
	v_or_b32_sdwa v26, v26, v27 dst_sel:DWORD dst_unused:UNUSED_PAD src0_sel:WORD_0 src1_sel:DWORD
	v_add_u32_e32 v9, v9, v20
	v_cndmask_b32_e32 v14, v26, v14, vcc
	v_cndmask_b32_e32 v15, v25, v15, vcc
	;; [unrolled: 1-line block ×6, first 2 shown]
	v_cmp_ne_u32_e32 vcc, 0, v9
	v_cndmask_b32_e32 v21, 11, v16, vcc
	v_lshrrev_b32_e32 v22, 8, v16
	v_cmp_ne_u32_e32 vcc, 1, v9
	v_cndmask_b32_e32 v22, 11, v22, vcc
	v_lshlrev_b16_e32 v22, 8, v22
	v_or_b32_sdwa v21, v21, v22 dst_sel:DWORD dst_unused:UNUSED_PAD src0_sel:BYTE_0 src1_sel:DWORD
	v_lshrrev_b32_e32 v22, 24, v16
	v_cmp_ne_u32_e32 vcc, 3, v9
	v_cndmask_b32_e32 v22, 11, v22, vcc
	v_lshrrev_b32_e32 v23, 16, v16
	v_cmp_ne_u32_e32 vcc, 2, v9
	v_lshlrev_b16_e32 v22, 8, v22
	v_cndmask_b32_e32 v23, 11, v23, vcc
	v_or_b32_sdwa v22, v23, v22 dst_sel:WORD_1 dst_unused:UNUSED_PAD src0_sel:BYTE_0 src1_sel:DWORD
	v_cmp_ne_u32_e32 vcc, 4, v9
	v_or_b32_sdwa v21, v21, v22 dst_sel:DWORD dst_unused:UNUSED_PAD src0_sel:WORD_0 src1_sel:DWORD
	v_cndmask_b32_e32 v22, 11, v18, vcc
	v_lshrrev_b32_e32 v23, 8, v18
	v_cmp_ne_u32_e32 vcc, 5, v9
	v_cndmask_b32_e32 v23, 11, v23, vcc
	v_lshlrev_b16_e32 v23, 8, v23
	v_or_b32_sdwa v22, v22, v23 dst_sel:DWORD dst_unused:UNUSED_PAD src0_sel:BYTE_0 src1_sel:DWORD
	v_lshrrev_b32_e32 v23, 24, v18
	v_cmp_ne_u32_e32 vcc, 7, v9
	v_cndmask_b32_e32 v23, 11, v23, vcc
	v_lshrrev_b32_e32 v24, 16, v18
	v_cmp_ne_u32_e32 vcc, 6, v9
	v_lshlrev_b16_e32 v23, 8, v23
	v_cndmask_b32_e32 v24, 11, v24, vcc
	v_or_b32_sdwa v23, v24, v23 dst_sel:WORD_1 dst_unused:UNUSED_PAD src0_sel:BYTE_0 src1_sel:DWORD
	v_cmp_ne_u32_e32 vcc, 8, v9
	v_or_b32_sdwa v22, v22, v23 dst_sel:DWORD dst_unused:UNUSED_PAD src0_sel:WORD_0 src1_sel:DWORD
	;; [unrolled: 16-line block ×5, first 2 shown]
	v_cndmask_b32_e32 v26, 11, v14, vcc
	v_lshrrev_b32_e32 v27, 8, v14
	v_cmp_ne_u32_e32 vcc, 21, v9
	v_cndmask_b32_e32 v27, 11, v27, vcc
	v_lshlrev_b16_e32 v27, 8, v27
	v_or_b32_sdwa v26, v26, v27 dst_sel:DWORD dst_unused:UNUSED_PAD src0_sel:BYTE_0 src1_sel:DWORD
	v_lshrrev_b32_e32 v27, 24, v14
	v_cmp_ne_u32_e32 vcc, 23, v9
	v_cndmask_b32_e32 v27, 11, v27, vcc
	v_lshrrev_b32_e32 v36, 16, v14
	v_cmp_ne_u32_e32 vcc, 22, v9
	v_and_b32_e32 v20, 0x800, v8
	v_lshlrev_b16_e32 v27, 8, v27
	v_cndmask_b32_e32 v36, 11, v36, vcc
	v_or_b32_sdwa v27, v36, v27 dst_sel:WORD_1 dst_unused:UNUSED_PAD src0_sel:BYTE_0 src1_sel:DWORD
	v_cmp_eq_u32_e32 vcc, 0, v20
	v_bfe_u32 v20, v8, 11, 1
	v_or_b32_sdwa v26, v26, v27 dst_sel:DWORD dst_unused:UNUSED_PAD src0_sel:WORD_0 src1_sel:DWORD
	v_add_u32_e32 v9, v9, v20
	v_cndmask_b32_e32 v14, v26, v14, vcc
	v_cndmask_b32_e32 v15, v25, v15, vcc
	;; [unrolled: 1-line block ×6, first 2 shown]
	v_cmp_ne_u32_e32 vcc, 0, v9
	v_cndmask_b32_e32 v21, 12, v16, vcc
	v_lshrrev_b32_e32 v22, 8, v16
	v_cmp_ne_u32_e32 vcc, 1, v9
	v_cndmask_b32_e32 v22, 12, v22, vcc
	v_lshlrev_b16_e32 v22, 8, v22
	v_or_b32_sdwa v21, v21, v22 dst_sel:DWORD dst_unused:UNUSED_PAD src0_sel:BYTE_0 src1_sel:DWORD
	v_lshrrev_b32_e32 v22, 24, v16
	v_cmp_ne_u32_e32 vcc, 3, v9
	v_cndmask_b32_e32 v22, 12, v22, vcc
	v_lshrrev_b32_e32 v23, 16, v16
	v_cmp_ne_u32_e32 vcc, 2, v9
	v_lshlrev_b16_e32 v22, 8, v22
	v_cndmask_b32_e32 v23, 12, v23, vcc
	v_or_b32_sdwa v22, v23, v22 dst_sel:WORD_1 dst_unused:UNUSED_PAD src0_sel:BYTE_0 src1_sel:DWORD
	v_cmp_ne_u32_e32 vcc, 4, v9
	v_or_b32_sdwa v21, v21, v22 dst_sel:DWORD dst_unused:UNUSED_PAD src0_sel:WORD_0 src1_sel:DWORD
	v_cndmask_b32_e32 v22, 12, v18, vcc
	v_lshrrev_b32_e32 v23, 8, v18
	v_cmp_ne_u32_e32 vcc, 5, v9
	v_cndmask_b32_e32 v23, 12, v23, vcc
	v_lshlrev_b16_e32 v23, 8, v23
	v_or_b32_sdwa v22, v22, v23 dst_sel:DWORD dst_unused:UNUSED_PAD src0_sel:BYTE_0 src1_sel:DWORD
	v_lshrrev_b32_e32 v23, 24, v18
	v_cmp_ne_u32_e32 vcc, 7, v9
	v_cndmask_b32_e32 v23, 12, v23, vcc
	v_lshrrev_b32_e32 v24, 16, v18
	v_cmp_ne_u32_e32 vcc, 6, v9
	v_lshlrev_b16_e32 v23, 8, v23
	v_cndmask_b32_e32 v24, 12, v24, vcc
	v_or_b32_sdwa v23, v24, v23 dst_sel:WORD_1 dst_unused:UNUSED_PAD src0_sel:BYTE_0 src1_sel:DWORD
	v_cmp_ne_u32_e32 vcc, 8, v9
	v_or_b32_sdwa v22, v22, v23 dst_sel:DWORD dst_unused:UNUSED_PAD src0_sel:WORD_0 src1_sel:DWORD
	v_cndmask_b32_e32 v23, 12, v19, vcc
	v_lshrrev_b32_e32 v24, 8, v19
	v_cmp_ne_u32_e32 vcc, 9, v9
	v_cndmask_b32_e32 v24, 12, v24, vcc
	v_lshlrev_b16_e32 v24, 8, v24
	v_or_b32_sdwa v23, v23, v24 dst_sel:DWORD dst_unused:UNUSED_PAD src0_sel:BYTE_0 src1_sel:DWORD
	v_lshrrev_b32_e32 v24, 24, v19
	v_cmp_ne_u32_e32 vcc, 11, v9
	v_cndmask_b32_e32 v24, 12, v24, vcc
	v_lshrrev_b32_e32 v25, 16, v19
	v_cmp_ne_u32_e32 vcc, 10, v9
	v_lshlrev_b16_e32 v24, 8, v24
	v_cndmask_b32_e32 v25, 12, v25, vcc
	v_or_b32_sdwa v24, v25, v24 dst_sel:WORD_1 dst_unused:UNUSED_PAD src0_sel:BYTE_0 src1_sel:DWORD
	v_cmp_ne_u32_e32 vcc, 12, v9
	v_or_b32_sdwa v23, v23, v24 dst_sel:DWORD dst_unused:UNUSED_PAD src0_sel:WORD_0 src1_sel:DWORD
	v_cndmask_b32_e32 v24, 12, v17, vcc
	v_lshrrev_b32_e32 v25, 8, v17
	v_cmp_ne_u32_e32 vcc, 13, v9
	v_cndmask_b32_e32 v25, 12, v25, vcc
	v_lshlrev_b16_e32 v25, 8, v25
	v_or_b32_sdwa v24, v24, v25 dst_sel:DWORD dst_unused:UNUSED_PAD src0_sel:BYTE_0 src1_sel:DWORD
	v_lshrrev_b32_e32 v25, 24, v17
	v_cmp_ne_u32_e32 vcc, 15, v9
	v_cndmask_b32_e32 v25, 12, v25, vcc
	v_lshrrev_b32_e32 v26, 16, v17
	v_cmp_ne_u32_e32 vcc, 14, v9
	v_lshlrev_b16_e32 v25, 8, v25
	v_cndmask_b32_e32 v26, 12, v26, vcc
	v_or_b32_sdwa v25, v26, v25 dst_sel:WORD_1 dst_unused:UNUSED_PAD src0_sel:BYTE_0 src1_sel:DWORD
	v_cmp_ne_u32_e32 vcc, 16, v9
	v_or_b32_sdwa v24, v24, v25 dst_sel:DWORD dst_unused:UNUSED_PAD src0_sel:WORD_0 src1_sel:DWORD
	v_cndmask_b32_e32 v25, 12, v15, vcc
	v_lshrrev_b32_e32 v26, 8, v15
	v_cmp_ne_u32_e32 vcc, 17, v9
	v_cndmask_b32_e32 v26, 12, v26, vcc
	v_lshlrev_b16_e32 v26, 8, v26
	v_or_b32_sdwa v25, v25, v26 dst_sel:DWORD dst_unused:UNUSED_PAD src0_sel:BYTE_0 src1_sel:DWORD
	v_lshrrev_b32_e32 v26, 24, v15
	v_cmp_ne_u32_e32 vcc, 19, v9
	v_cndmask_b32_e32 v26, 12, v26, vcc
	v_lshrrev_b32_e32 v27, 16, v15
	v_cmp_ne_u32_e32 vcc, 18, v9
	v_lshlrev_b16_e32 v26, 8, v26
	v_cndmask_b32_e32 v27, 12, v27, vcc
	v_or_b32_sdwa v26, v27, v26 dst_sel:WORD_1 dst_unused:UNUSED_PAD src0_sel:BYTE_0 src1_sel:DWORD
	v_cmp_ne_u32_e32 vcc, 20, v9
	v_or_b32_sdwa v25, v25, v26 dst_sel:DWORD dst_unused:UNUSED_PAD src0_sel:WORD_0 src1_sel:DWORD
	v_cndmask_b32_e32 v26, 12, v14, vcc
	v_lshrrev_b32_e32 v27, 8, v14
	v_cmp_ne_u32_e32 vcc, 21, v9
	v_cndmask_b32_e32 v27, 12, v27, vcc
	v_lshlrev_b16_e32 v27, 8, v27
	v_or_b32_sdwa v26, v26, v27 dst_sel:DWORD dst_unused:UNUSED_PAD src0_sel:BYTE_0 src1_sel:DWORD
	v_lshrrev_b32_e32 v27, 24, v14
	v_cmp_ne_u32_e32 vcc, 23, v9
	v_cndmask_b32_e32 v27, 12, v27, vcc
	v_lshrrev_b32_e32 v36, 16, v14
	v_cmp_ne_u32_e32 vcc, 22, v9
	v_and_b32_e32 v20, 0x1000, v8
	v_lshlrev_b16_e32 v27, 8, v27
	v_cndmask_b32_e32 v36, 12, v36, vcc
	v_or_b32_sdwa v27, v36, v27 dst_sel:WORD_1 dst_unused:UNUSED_PAD src0_sel:BYTE_0 src1_sel:DWORD
	v_cmp_eq_u32_e32 vcc, 0, v20
	v_bfe_u32 v20, v8, 12, 1
	v_or_b32_sdwa v26, v26, v27 dst_sel:DWORD dst_unused:UNUSED_PAD src0_sel:WORD_0 src1_sel:DWORD
	v_add_u32_e32 v9, v9, v20
	v_cndmask_b32_e32 v14, v26, v14, vcc
	v_cndmask_b32_e32 v15, v25, v15, vcc
	;; [unrolled: 1-line block ×6, first 2 shown]
	v_cmp_ne_u32_e32 vcc, 0, v9
	v_cndmask_b32_e32 v21, 13, v16, vcc
	v_lshrrev_b32_e32 v22, 8, v16
	v_cmp_ne_u32_e32 vcc, 1, v9
	v_cndmask_b32_e32 v22, 13, v22, vcc
	v_lshlrev_b16_e32 v22, 8, v22
	v_or_b32_sdwa v21, v21, v22 dst_sel:DWORD dst_unused:UNUSED_PAD src0_sel:BYTE_0 src1_sel:DWORD
	v_lshrrev_b32_e32 v22, 24, v16
	v_cmp_ne_u32_e32 vcc, 3, v9
	v_cndmask_b32_e32 v22, 13, v22, vcc
	v_lshrrev_b32_e32 v23, 16, v16
	v_cmp_ne_u32_e32 vcc, 2, v9
	v_lshlrev_b16_e32 v22, 8, v22
	v_cndmask_b32_e32 v23, 13, v23, vcc
	v_or_b32_sdwa v22, v23, v22 dst_sel:WORD_1 dst_unused:UNUSED_PAD src0_sel:BYTE_0 src1_sel:DWORD
	v_cmp_ne_u32_e32 vcc, 4, v9
	v_or_b32_sdwa v21, v21, v22 dst_sel:DWORD dst_unused:UNUSED_PAD src0_sel:WORD_0 src1_sel:DWORD
	v_cndmask_b32_e32 v22, 13, v18, vcc
	v_lshrrev_b32_e32 v23, 8, v18
	v_cmp_ne_u32_e32 vcc, 5, v9
	v_cndmask_b32_e32 v23, 13, v23, vcc
	v_lshlrev_b16_e32 v23, 8, v23
	v_or_b32_sdwa v22, v22, v23 dst_sel:DWORD dst_unused:UNUSED_PAD src0_sel:BYTE_0 src1_sel:DWORD
	v_lshrrev_b32_e32 v23, 24, v18
	v_cmp_ne_u32_e32 vcc, 7, v9
	v_cndmask_b32_e32 v23, 13, v23, vcc
	v_lshrrev_b32_e32 v24, 16, v18
	v_cmp_ne_u32_e32 vcc, 6, v9
	v_lshlrev_b16_e32 v23, 8, v23
	v_cndmask_b32_e32 v24, 13, v24, vcc
	v_or_b32_sdwa v23, v24, v23 dst_sel:WORD_1 dst_unused:UNUSED_PAD src0_sel:BYTE_0 src1_sel:DWORD
	v_cmp_ne_u32_e32 vcc, 8, v9
	v_or_b32_sdwa v22, v22, v23 dst_sel:DWORD dst_unused:UNUSED_PAD src0_sel:WORD_0 src1_sel:DWORD
	;; [unrolled: 16-line block ×5, first 2 shown]
	v_cndmask_b32_e32 v26, 13, v14, vcc
	v_lshrrev_b32_e32 v27, 8, v14
	v_cmp_ne_u32_e32 vcc, 21, v9
	v_cndmask_b32_e32 v27, 13, v27, vcc
	v_lshlrev_b16_e32 v27, 8, v27
	v_or_b32_sdwa v26, v26, v27 dst_sel:DWORD dst_unused:UNUSED_PAD src0_sel:BYTE_0 src1_sel:DWORD
	v_lshrrev_b32_e32 v27, 24, v14
	v_cmp_ne_u32_e32 vcc, 23, v9
	v_cndmask_b32_e32 v27, 13, v27, vcc
	v_lshrrev_b32_e32 v36, 16, v14
	v_cmp_ne_u32_e32 vcc, 22, v9
	v_and_b32_e32 v20, 0x2000, v8
	v_lshlrev_b16_e32 v27, 8, v27
	v_cndmask_b32_e32 v36, 13, v36, vcc
	v_or_b32_sdwa v27, v36, v27 dst_sel:WORD_1 dst_unused:UNUSED_PAD src0_sel:BYTE_0 src1_sel:DWORD
	v_cmp_eq_u32_e32 vcc, 0, v20
	v_bfe_u32 v20, v8, 13, 1
	v_or_b32_sdwa v26, v26, v27 dst_sel:DWORD dst_unused:UNUSED_PAD src0_sel:WORD_0 src1_sel:DWORD
	v_add_u32_e32 v9, v9, v20
	v_cndmask_b32_e32 v14, v26, v14, vcc
	v_cndmask_b32_e32 v15, v25, v15, vcc
	;; [unrolled: 1-line block ×6, first 2 shown]
	v_cmp_ne_u32_e32 vcc, 0, v9
	v_cndmask_b32_e32 v21, 14, v16, vcc
	v_lshrrev_b32_e32 v22, 8, v16
	v_cmp_ne_u32_e32 vcc, 1, v9
	v_cndmask_b32_e32 v22, 14, v22, vcc
	v_lshlrev_b16_e32 v22, 8, v22
	v_or_b32_sdwa v21, v21, v22 dst_sel:DWORD dst_unused:UNUSED_PAD src0_sel:BYTE_0 src1_sel:DWORD
	v_lshrrev_b32_e32 v22, 24, v16
	v_cmp_ne_u32_e32 vcc, 3, v9
	v_cndmask_b32_e32 v22, 14, v22, vcc
	v_lshrrev_b32_e32 v23, 16, v16
	v_cmp_ne_u32_e32 vcc, 2, v9
	v_lshlrev_b16_e32 v22, 8, v22
	v_cndmask_b32_e32 v23, 14, v23, vcc
	v_or_b32_sdwa v22, v23, v22 dst_sel:WORD_1 dst_unused:UNUSED_PAD src0_sel:BYTE_0 src1_sel:DWORD
	v_cmp_ne_u32_e32 vcc, 4, v9
	v_or_b32_sdwa v21, v21, v22 dst_sel:DWORD dst_unused:UNUSED_PAD src0_sel:WORD_0 src1_sel:DWORD
	v_cndmask_b32_e32 v22, 14, v18, vcc
	v_lshrrev_b32_e32 v23, 8, v18
	v_cmp_ne_u32_e32 vcc, 5, v9
	v_cndmask_b32_e32 v23, 14, v23, vcc
	v_lshlrev_b16_e32 v23, 8, v23
	v_or_b32_sdwa v22, v22, v23 dst_sel:DWORD dst_unused:UNUSED_PAD src0_sel:BYTE_0 src1_sel:DWORD
	v_lshrrev_b32_e32 v23, 24, v18
	v_cmp_ne_u32_e32 vcc, 7, v9
	v_cndmask_b32_e32 v23, 14, v23, vcc
	v_lshrrev_b32_e32 v24, 16, v18
	v_cmp_ne_u32_e32 vcc, 6, v9
	v_lshlrev_b16_e32 v23, 8, v23
	v_cndmask_b32_e32 v24, 14, v24, vcc
	v_or_b32_sdwa v23, v24, v23 dst_sel:WORD_1 dst_unused:UNUSED_PAD src0_sel:BYTE_0 src1_sel:DWORD
	v_cmp_ne_u32_e32 vcc, 8, v9
	v_or_b32_sdwa v22, v22, v23 dst_sel:DWORD dst_unused:UNUSED_PAD src0_sel:WORD_0 src1_sel:DWORD
	v_cndmask_b32_e32 v23, 14, v19, vcc
	v_lshrrev_b32_e32 v24, 8, v19
	v_cmp_ne_u32_e32 vcc, 9, v9
	v_cndmask_b32_e32 v24, 14, v24, vcc
	v_lshlrev_b16_e32 v24, 8, v24
	v_or_b32_sdwa v23, v23, v24 dst_sel:DWORD dst_unused:UNUSED_PAD src0_sel:BYTE_0 src1_sel:DWORD
	v_lshrrev_b32_e32 v24, 24, v19
	v_cmp_ne_u32_e32 vcc, 11, v9
	v_cndmask_b32_e32 v24, 14, v24, vcc
	v_lshrrev_b32_e32 v25, 16, v19
	v_cmp_ne_u32_e32 vcc, 10, v9
	v_lshlrev_b16_e32 v24, 8, v24
	v_cndmask_b32_e32 v25, 14, v25, vcc
	v_or_b32_sdwa v24, v25, v24 dst_sel:WORD_1 dst_unused:UNUSED_PAD src0_sel:BYTE_0 src1_sel:DWORD
	v_cmp_ne_u32_e32 vcc, 12, v9
	v_or_b32_sdwa v23, v23, v24 dst_sel:DWORD dst_unused:UNUSED_PAD src0_sel:WORD_0 src1_sel:DWORD
	v_cndmask_b32_e32 v24, 14, v17, vcc
	v_lshrrev_b32_e32 v25, 8, v17
	v_cmp_ne_u32_e32 vcc, 13, v9
	v_cndmask_b32_e32 v25, 14, v25, vcc
	v_lshlrev_b16_e32 v25, 8, v25
	v_or_b32_sdwa v24, v24, v25 dst_sel:DWORD dst_unused:UNUSED_PAD src0_sel:BYTE_0 src1_sel:DWORD
	v_lshrrev_b32_e32 v25, 24, v17
	v_cmp_ne_u32_e32 vcc, 15, v9
	v_cndmask_b32_e32 v25, 14, v25, vcc
	v_lshrrev_b32_e32 v26, 16, v17
	v_cmp_ne_u32_e32 vcc, 14, v9
	v_lshlrev_b16_e32 v25, 8, v25
	v_cndmask_b32_e32 v26, 14, v26, vcc
	v_or_b32_sdwa v25, v26, v25 dst_sel:WORD_1 dst_unused:UNUSED_PAD src0_sel:BYTE_0 src1_sel:DWORD
	v_cmp_ne_u32_e32 vcc, 16, v9
	v_or_b32_sdwa v24, v24, v25 dst_sel:DWORD dst_unused:UNUSED_PAD src0_sel:WORD_0 src1_sel:DWORD
	v_cndmask_b32_e32 v25, 14, v15, vcc
	v_lshrrev_b32_e32 v26, 8, v15
	v_cmp_ne_u32_e32 vcc, 17, v9
	v_cndmask_b32_e32 v26, 14, v26, vcc
	v_lshlrev_b16_e32 v26, 8, v26
	v_or_b32_sdwa v25, v25, v26 dst_sel:DWORD dst_unused:UNUSED_PAD src0_sel:BYTE_0 src1_sel:DWORD
	v_lshrrev_b32_e32 v26, 24, v15
	v_cmp_ne_u32_e32 vcc, 19, v9
	v_cndmask_b32_e32 v26, 14, v26, vcc
	v_lshrrev_b32_e32 v27, 16, v15
	v_cmp_ne_u32_e32 vcc, 18, v9
	v_lshlrev_b16_e32 v26, 8, v26
	v_cndmask_b32_e32 v27, 14, v27, vcc
	v_or_b32_sdwa v26, v27, v26 dst_sel:WORD_1 dst_unused:UNUSED_PAD src0_sel:BYTE_0 src1_sel:DWORD
	v_cmp_ne_u32_e32 vcc, 20, v9
	v_or_b32_sdwa v25, v25, v26 dst_sel:DWORD dst_unused:UNUSED_PAD src0_sel:WORD_0 src1_sel:DWORD
	v_cndmask_b32_e32 v26, 14, v14, vcc
	v_lshrrev_b32_e32 v27, 8, v14
	v_cmp_ne_u32_e32 vcc, 21, v9
	v_cndmask_b32_e32 v27, 14, v27, vcc
	v_lshlrev_b16_e32 v27, 8, v27
	v_or_b32_sdwa v26, v26, v27 dst_sel:DWORD dst_unused:UNUSED_PAD src0_sel:BYTE_0 src1_sel:DWORD
	v_lshrrev_b32_e32 v27, 24, v14
	v_cmp_ne_u32_e32 vcc, 23, v9
	v_cndmask_b32_e32 v27, 14, v27, vcc
	v_lshrrev_b32_e32 v36, 16, v14
	v_cmp_ne_u32_e32 vcc, 22, v9
	v_and_b32_e32 v20, 0x4000, v8
	v_lshlrev_b16_e32 v27, 8, v27
	v_cndmask_b32_e32 v36, 14, v36, vcc
	v_or_b32_sdwa v27, v36, v27 dst_sel:WORD_1 dst_unused:UNUSED_PAD src0_sel:BYTE_0 src1_sel:DWORD
	v_cmp_eq_u32_e32 vcc, 0, v20
	v_bfe_u32 v20, v8, 14, 1
	v_or_b32_sdwa v26, v26, v27 dst_sel:DWORD dst_unused:UNUSED_PAD src0_sel:WORD_0 src1_sel:DWORD
	v_add_u32_e32 v9, v9, v20
	v_cndmask_b32_e32 v14, v26, v14, vcc
	v_cndmask_b32_e32 v15, v25, v15, vcc
	;; [unrolled: 1-line block ×6, first 2 shown]
	v_cmp_ne_u32_e32 vcc, 0, v9
	v_cndmask_b32_e32 v21, 15, v16, vcc
	v_lshrrev_b32_e32 v22, 8, v16
	v_cmp_ne_u32_e32 vcc, 1, v9
	v_cndmask_b32_e32 v22, 15, v22, vcc
	v_lshlrev_b16_e32 v22, 8, v22
	v_or_b32_sdwa v21, v21, v22 dst_sel:DWORD dst_unused:UNUSED_PAD src0_sel:BYTE_0 src1_sel:DWORD
	v_lshrrev_b32_e32 v22, 24, v16
	v_cmp_ne_u32_e32 vcc, 3, v9
	v_cndmask_b32_e32 v22, 15, v22, vcc
	v_lshrrev_b32_e32 v23, 16, v16
	v_cmp_ne_u32_e32 vcc, 2, v9
	v_lshlrev_b16_e32 v22, 8, v22
	v_cndmask_b32_e32 v23, 15, v23, vcc
	v_or_b32_sdwa v22, v23, v22 dst_sel:WORD_1 dst_unused:UNUSED_PAD src0_sel:BYTE_0 src1_sel:DWORD
	v_cmp_ne_u32_e32 vcc, 4, v9
	v_or_b32_sdwa v21, v21, v22 dst_sel:DWORD dst_unused:UNUSED_PAD src0_sel:WORD_0 src1_sel:DWORD
	v_cndmask_b32_e32 v22, 15, v18, vcc
	v_lshrrev_b32_e32 v23, 8, v18
	v_cmp_ne_u32_e32 vcc, 5, v9
	v_cndmask_b32_e32 v23, 15, v23, vcc
	v_lshlrev_b16_e32 v23, 8, v23
	v_or_b32_sdwa v22, v22, v23 dst_sel:DWORD dst_unused:UNUSED_PAD src0_sel:BYTE_0 src1_sel:DWORD
	v_lshrrev_b32_e32 v23, 24, v18
	v_cmp_ne_u32_e32 vcc, 7, v9
	v_cndmask_b32_e32 v23, 15, v23, vcc
	v_lshrrev_b32_e32 v24, 16, v18
	v_cmp_ne_u32_e32 vcc, 6, v9
	v_lshlrev_b16_e32 v23, 8, v23
	v_cndmask_b32_e32 v24, 15, v24, vcc
	v_or_b32_sdwa v23, v24, v23 dst_sel:WORD_1 dst_unused:UNUSED_PAD src0_sel:BYTE_0 src1_sel:DWORD
	v_cmp_ne_u32_e32 vcc, 8, v9
	v_or_b32_sdwa v22, v22, v23 dst_sel:DWORD dst_unused:UNUSED_PAD src0_sel:WORD_0 src1_sel:DWORD
	;; [unrolled: 16-line block ×5, first 2 shown]
	v_cndmask_b32_e32 v26, 15, v14, vcc
	v_lshrrev_b32_e32 v27, 8, v14
	v_cmp_ne_u32_e32 vcc, 21, v9
	v_cndmask_b32_e32 v27, 15, v27, vcc
	v_lshlrev_b16_e32 v27, 8, v27
	v_or_b32_sdwa v26, v26, v27 dst_sel:DWORD dst_unused:UNUSED_PAD src0_sel:BYTE_0 src1_sel:DWORD
	v_lshrrev_b32_e32 v27, 24, v14
	v_cmp_ne_u32_e32 vcc, 23, v9
	v_cndmask_b32_e32 v27, 15, v27, vcc
	v_lshrrev_b32_e32 v36, 16, v14
	v_cmp_ne_u32_e32 vcc, 22, v9
	v_and_b32_e32 v20, 0x8000, v8
	v_lshlrev_b16_e32 v27, 8, v27
	v_cndmask_b32_e32 v36, 15, v36, vcc
	v_or_b32_sdwa v27, v36, v27 dst_sel:WORD_1 dst_unused:UNUSED_PAD src0_sel:BYTE_0 src1_sel:DWORD
	v_cmp_eq_u32_e32 vcc, 0, v20
	v_bfe_u32 v20, v8, 15, 1
	v_or_b32_sdwa v26, v26, v27 dst_sel:DWORD dst_unused:UNUSED_PAD src0_sel:WORD_0 src1_sel:DWORD
	v_add_u32_e32 v9, v9, v20
	v_cndmask_b32_e32 v14, v26, v14, vcc
	v_cndmask_b32_e32 v15, v25, v15, vcc
	;; [unrolled: 1-line block ×6, first 2 shown]
	v_cmp_ne_u32_e32 vcc, 0, v9
	v_cndmask_b32_e32 v21, 16, v16, vcc
	v_lshrrev_b32_e32 v22, 8, v16
	v_cmp_ne_u32_e32 vcc, 1, v9
	v_cndmask_b32_e32 v22, 16, v22, vcc
	v_lshlrev_b16_e32 v22, 8, v22
	v_or_b32_sdwa v21, v21, v22 dst_sel:DWORD dst_unused:UNUSED_PAD src0_sel:BYTE_0 src1_sel:DWORD
	v_lshrrev_b32_e32 v22, 24, v16
	v_cmp_ne_u32_e32 vcc, 3, v9
	v_cndmask_b32_e32 v22, 16, v22, vcc
	v_lshrrev_b32_e32 v23, 16, v16
	v_cmp_ne_u32_e32 vcc, 2, v9
	v_lshlrev_b16_e32 v22, 8, v22
	v_cndmask_b32_e32 v23, 16, v23, vcc
	v_or_b32_sdwa v22, v23, v22 dst_sel:WORD_1 dst_unused:UNUSED_PAD src0_sel:BYTE_0 src1_sel:DWORD
	v_cmp_ne_u32_e32 vcc, 4, v9
	v_or_b32_sdwa v21, v21, v22 dst_sel:DWORD dst_unused:UNUSED_PAD src0_sel:WORD_0 src1_sel:DWORD
	v_cndmask_b32_e32 v22, 16, v18, vcc
	v_lshrrev_b32_e32 v23, 8, v18
	v_cmp_ne_u32_e32 vcc, 5, v9
	v_cndmask_b32_e32 v23, 16, v23, vcc
	v_lshlrev_b16_e32 v23, 8, v23
	v_or_b32_sdwa v22, v22, v23 dst_sel:DWORD dst_unused:UNUSED_PAD src0_sel:BYTE_0 src1_sel:DWORD
	v_lshrrev_b32_e32 v23, 24, v18
	v_cmp_ne_u32_e32 vcc, 7, v9
	v_cndmask_b32_e32 v23, 16, v23, vcc
	v_lshrrev_b32_e32 v24, 16, v18
	v_cmp_ne_u32_e32 vcc, 6, v9
	v_lshlrev_b16_e32 v23, 8, v23
	v_cndmask_b32_e32 v24, 16, v24, vcc
	v_or_b32_sdwa v23, v24, v23 dst_sel:WORD_1 dst_unused:UNUSED_PAD src0_sel:BYTE_0 src1_sel:DWORD
	v_cmp_ne_u32_e32 vcc, 8, v9
	v_or_b32_sdwa v22, v22, v23 dst_sel:DWORD dst_unused:UNUSED_PAD src0_sel:WORD_0 src1_sel:DWORD
	;; [unrolled: 16-line block ×5, first 2 shown]
	v_cndmask_b32_e32 v26, 16, v14, vcc
	v_lshrrev_b32_e32 v27, 8, v14
	v_cmp_ne_u32_e32 vcc, 21, v9
	v_cndmask_b32_e32 v27, 16, v27, vcc
	v_lshlrev_b16_e32 v27, 8, v27
	v_or_b32_sdwa v26, v26, v27 dst_sel:DWORD dst_unused:UNUSED_PAD src0_sel:BYTE_0 src1_sel:DWORD
	v_lshrrev_b32_e32 v27, 24, v14
	v_cmp_ne_u32_e32 vcc, 23, v9
	v_cndmask_b32_e32 v27, 16, v27, vcc
	v_lshrrev_b32_e32 v36, 16, v14
	v_cmp_ne_u32_e32 vcc, 22, v9
	v_and_b32_e32 v20, 0x10000, v8
	v_lshlrev_b16_e32 v27, 8, v27
	v_cndmask_b32_e32 v36, 16, v36, vcc
	v_or_b32_sdwa v27, v36, v27 dst_sel:WORD_1 dst_unused:UNUSED_PAD src0_sel:BYTE_0 src1_sel:DWORD
	v_cmp_eq_u32_e32 vcc, 0, v20
	v_bfe_u32 v20, v8, 16, 1
	v_or_b32_sdwa v26, v26, v27 dst_sel:DWORD dst_unused:UNUSED_PAD src0_sel:WORD_0 src1_sel:DWORD
	v_add_u32_e32 v9, v9, v20
	v_cndmask_b32_e32 v14, v26, v14, vcc
	v_cndmask_b32_e32 v15, v25, v15, vcc
	v_cndmask_b32_e32 v17, v24, v17, vcc
	v_cndmask_b32_e32 v19, v23, v19, vcc
	v_cndmask_b32_e32 v18, v22, v18, vcc
	v_cndmask_b32_e32 v16, v21, v16, vcc
	v_cmp_ne_u32_e32 vcc, 0, v9
	v_cndmask_b32_e32 v21, 17, v16, vcc
	v_lshrrev_b32_e32 v22, 8, v16
	v_cmp_ne_u32_e32 vcc, 1, v9
	v_cndmask_b32_e32 v22, 17, v22, vcc
	v_lshlrev_b16_e32 v22, 8, v22
	v_or_b32_sdwa v21, v21, v22 dst_sel:DWORD dst_unused:UNUSED_PAD src0_sel:BYTE_0 src1_sel:DWORD
	v_lshrrev_b32_e32 v22, 24, v16
	v_cmp_ne_u32_e32 vcc, 3, v9
	v_cndmask_b32_e32 v22, 17, v22, vcc
	v_lshrrev_b32_e32 v23, 16, v16
	v_cmp_ne_u32_e32 vcc, 2, v9
	v_lshlrev_b16_e32 v22, 8, v22
	v_cndmask_b32_e32 v23, 17, v23, vcc
	v_or_b32_sdwa v22, v23, v22 dst_sel:WORD_1 dst_unused:UNUSED_PAD src0_sel:BYTE_0 src1_sel:DWORD
	v_cmp_ne_u32_e32 vcc, 4, v9
	v_or_b32_sdwa v21, v21, v22 dst_sel:DWORD dst_unused:UNUSED_PAD src0_sel:WORD_0 src1_sel:DWORD
	v_cndmask_b32_e32 v22, 17, v18, vcc
	v_lshrrev_b32_e32 v23, 8, v18
	v_cmp_ne_u32_e32 vcc, 5, v9
	v_cndmask_b32_e32 v23, 17, v23, vcc
	v_lshlrev_b16_e32 v23, 8, v23
	v_or_b32_sdwa v22, v22, v23 dst_sel:DWORD dst_unused:UNUSED_PAD src0_sel:BYTE_0 src1_sel:DWORD
	v_lshrrev_b32_e32 v23, 24, v18
	v_cmp_ne_u32_e32 vcc, 7, v9
	v_cndmask_b32_e32 v23, 17, v23, vcc
	v_lshrrev_b32_e32 v24, 16, v18
	v_cmp_ne_u32_e32 vcc, 6, v9
	v_lshlrev_b16_e32 v23, 8, v23
	v_cndmask_b32_e32 v24, 17, v24, vcc
	v_or_b32_sdwa v23, v24, v23 dst_sel:WORD_1 dst_unused:UNUSED_PAD src0_sel:BYTE_0 src1_sel:DWORD
	v_cmp_ne_u32_e32 vcc, 8, v9
	v_or_b32_sdwa v22, v22, v23 dst_sel:DWORD dst_unused:UNUSED_PAD src0_sel:WORD_0 src1_sel:DWORD
	;; [unrolled: 16-line block ×5, first 2 shown]
	v_cndmask_b32_e32 v26, 17, v14, vcc
	v_lshrrev_b32_e32 v27, 8, v14
	v_cmp_ne_u32_e32 vcc, 21, v9
	v_cndmask_b32_e32 v27, 17, v27, vcc
	v_lshlrev_b16_e32 v27, 8, v27
	v_or_b32_sdwa v26, v26, v27 dst_sel:DWORD dst_unused:UNUSED_PAD src0_sel:BYTE_0 src1_sel:DWORD
	v_lshrrev_b32_e32 v27, 24, v14
	v_cmp_ne_u32_e32 vcc, 23, v9
	v_cndmask_b32_e32 v27, 17, v27, vcc
	v_lshrrev_b32_e32 v36, 16, v14
	v_cmp_ne_u32_e32 vcc, 22, v9
	v_and_b32_e32 v20, 0x20000, v8
	v_lshlrev_b16_e32 v27, 8, v27
	v_cndmask_b32_e32 v36, 17, v36, vcc
	v_or_b32_sdwa v27, v36, v27 dst_sel:WORD_1 dst_unused:UNUSED_PAD src0_sel:BYTE_0 src1_sel:DWORD
	v_cmp_eq_u32_e32 vcc, 0, v20
	v_bfe_u32 v20, v8, 17, 1
	v_or_b32_sdwa v26, v26, v27 dst_sel:DWORD dst_unused:UNUSED_PAD src0_sel:WORD_0 src1_sel:DWORD
	v_add_u32_e32 v9, v9, v20
	v_cndmask_b32_e32 v14, v26, v14, vcc
	v_cndmask_b32_e32 v15, v25, v15, vcc
	;; [unrolled: 1-line block ×6, first 2 shown]
	v_cmp_ne_u32_e32 vcc, 0, v9
	v_cndmask_b32_e32 v21, 18, v16, vcc
	v_lshrrev_b32_e32 v22, 8, v16
	v_cmp_ne_u32_e32 vcc, 1, v9
	v_cndmask_b32_e32 v22, 18, v22, vcc
	v_lshlrev_b16_e32 v22, 8, v22
	v_or_b32_sdwa v21, v21, v22 dst_sel:DWORD dst_unused:UNUSED_PAD src0_sel:BYTE_0 src1_sel:DWORD
	v_lshrrev_b32_e32 v22, 24, v16
	v_cmp_ne_u32_e32 vcc, 3, v9
	v_cndmask_b32_e32 v22, 18, v22, vcc
	v_lshrrev_b32_e32 v23, 16, v16
	v_cmp_ne_u32_e32 vcc, 2, v9
	v_lshlrev_b16_e32 v22, 8, v22
	v_cndmask_b32_e32 v23, 18, v23, vcc
	v_or_b32_sdwa v22, v23, v22 dst_sel:WORD_1 dst_unused:UNUSED_PAD src0_sel:BYTE_0 src1_sel:DWORD
	v_cmp_ne_u32_e32 vcc, 4, v9
	v_or_b32_sdwa v21, v21, v22 dst_sel:DWORD dst_unused:UNUSED_PAD src0_sel:WORD_0 src1_sel:DWORD
	v_cndmask_b32_e32 v22, 18, v18, vcc
	v_lshrrev_b32_e32 v23, 8, v18
	v_cmp_ne_u32_e32 vcc, 5, v9
	v_cndmask_b32_e32 v23, 18, v23, vcc
	v_lshlrev_b16_e32 v23, 8, v23
	v_or_b32_sdwa v22, v22, v23 dst_sel:DWORD dst_unused:UNUSED_PAD src0_sel:BYTE_0 src1_sel:DWORD
	v_lshrrev_b32_e32 v23, 24, v18
	v_cmp_ne_u32_e32 vcc, 7, v9
	v_cndmask_b32_e32 v23, 18, v23, vcc
	v_lshrrev_b32_e32 v24, 16, v18
	v_cmp_ne_u32_e32 vcc, 6, v9
	v_lshlrev_b16_e32 v23, 8, v23
	v_cndmask_b32_e32 v24, 18, v24, vcc
	v_or_b32_sdwa v23, v24, v23 dst_sel:WORD_1 dst_unused:UNUSED_PAD src0_sel:BYTE_0 src1_sel:DWORD
	v_cmp_ne_u32_e32 vcc, 8, v9
	v_or_b32_sdwa v22, v22, v23 dst_sel:DWORD dst_unused:UNUSED_PAD src0_sel:WORD_0 src1_sel:DWORD
	;; [unrolled: 16-line block ×5, first 2 shown]
	v_cndmask_b32_e32 v26, 18, v14, vcc
	v_lshrrev_b32_e32 v27, 8, v14
	v_cmp_ne_u32_e32 vcc, 21, v9
	v_cndmask_b32_e32 v27, 18, v27, vcc
	v_lshlrev_b16_e32 v27, 8, v27
	v_or_b32_sdwa v26, v26, v27 dst_sel:DWORD dst_unused:UNUSED_PAD src0_sel:BYTE_0 src1_sel:DWORD
	v_lshrrev_b32_e32 v27, 24, v14
	v_cmp_ne_u32_e32 vcc, 23, v9
	v_cndmask_b32_e32 v27, 18, v27, vcc
	v_lshrrev_b32_e32 v36, 16, v14
	v_cmp_ne_u32_e32 vcc, 22, v9
	v_and_b32_e32 v20, 0x40000, v8
	v_lshlrev_b16_e32 v27, 8, v27
	v_cndmask_b32_e32 v36, 18, v36, vcc
	v_or_b32_sdwa v27, v36, v27 dst_sel:WORD_1 dst_unused:UNUSED_PAD src0_sel:BYTE_0 src1_sel:DWORD
	v_cmp_eq_u32_e32 vcc, 0, v20
	v_bfe_u32 v20, v8, 18, 1
	v_or_b32_sdwa v26, v26, v27 dst_sel:DWORD dst_unused:UNUSED_PAD src0_sel:WORD_0 src1_sel:DWORD
	v_add_u32_e32 v9, v9, v20
	v_cndmask_b32_e32 v14, v26, v14, vcc
	v_cndmask_b32_e32 v15, v25, v15, vcc
	;; [unrolled: 1-line block ×6, first 2 shown]
	v_cmp_ne_u32_e32 vcc, 0, v9
	v_cndmask_b32_e32 v21, 19, v16, vcc
	v_lshrrev_b32_e32 v22, 8, v16
	v_cmp_ne_u32_e32 vcc, 1, v9
	v_cndmask_b32_e32 v22, 19, v22, vcc
	v_lshlrev_b16_e32 v22, 8, v22
	v_or_b32_sdwa v21, v21, v22 dst_sel:DWORD dst_unused:UNUSED_PAD src0_sel:BYTE_0 src1_sel:DWORD
	v_lshrrev_b32_e32 v22, 24, v16
	v_cmp_ne_u32_e32 vcc, 3, v9
	v_cndmask_b32_e32 v22, 19, v22, vcc
	v_lshrrev_b32_e32 v23, 16, v16
	v_cmp_ne_u32_e32 vcc, 2, v9
	v_lshlrev_b16_e32 v22, 8, v22
	v_cndmask_b32_e32 v23, 19, v23, vcc
	v_or_b32_sdwa v22, v23, v22 dst_sel:WORD_1 dst_unused:UNUSED_PAD src0_sel:BYTE_0 src1_sel:DWORD
	v_cmp_ne_u32_e32 vcc, 4, v9
	v_or_b32_sdwa v21, v21, v22 dst_sel:DWORD dst_unused:UNUSED_PAD src0_sel:WORD_0 src1_sel:DWORD
	v_cndmask_b32_e32 v22, 19, v18, vcc
	v_lshrrev_b32_e32 v23, 8, v18
	v_cmp_ne_u32_e32 vcc, 5, v9
	v_cndmask_b32_e32 v23, 19, v23, vcc
	v_lshlrev_b16_e32 v23, 8, v23
	v_or_b32_sdwa v22, v22, v23 dst_sel:DWORD dst_unused:UNUSED_PAD src0_sel:BYTE_0 src1_sel:DWORD
	v_lshrrev_b32_e32 v23, 24, v18
	v_cmp_ne_u32_e32 vcc, 7, v9
	v_cndmask_b32_e32 v23, 19, v23, vcc
	v_lshrrev_b32_e32 v24, 16, v18
	v_cmp_ne_u32_e32 vcc, 6, v9
	v_lshlrev_b16_e32 v23, 8, v23
	v_cndmask_b32_e32 v24, 19, v24, vcc
	v_or_b32_sdwa v23, v24, v23 dst_sel:WORD_1 dst_unused:UNUSED_PAD src0_sel:BYTE_0 src1_sel:DWORD
	v_cmp_ne_u32_e32 vcc, 8, v9
	v_or_b32_sdwa v22, v22, v23 dst_sel:DWORD dst_unused:UNUSED_PAD src0_sel:WORD_0 src1_sel:DWORD
	;; [unrolled: 16-line block ×5, first 2 shown]
	v_cndmask_b32_e32 v26, 19, v14, vcc
	v_lshrrev_b32_e32 v27, 8, v14
	v_cmp_ne_u32_e32 vcc, 21, v9
	v_cndmask_b32_e32 v27, 19, v27, vcc
	v_lshlrev_b16_e32 v27, 8, v27
	v_or_b32_sdwa v26, v26, v27 dst_sel:DWORD dst_unused:UNUSED_PAD src0_sel:BYTE_0 src1_sel:DWORD
	v_lshrrev_b32_e32 v27, 24, v14
	v_cmp_ne_u32_e32 vcc, 23, v9
	v_cndmask_b32_e32 v27, 19, v27, vcc
	v_lshrrev_b32_e32 v36, 16, v14
	v_cmp_ne_u32_e32 vcc, 22, v9
	v_and_b32_e32 v20, 0x80000, v8
	v_lshlrev_b16_e32 v27, 8, v27
	v_cndmask_b32_e32 v36, 19, v36, vcc
	v_or_b32_sdwa v27, v36, v27 dst_sel:WORD_1 dst_unused:UNUSED_PAD src0_sel:BYTE_0 src1_sel:DWORD
	v_cmp_eq_u32_e32 vcc, 0, v20
	v_bfe_u32 v20, v8, 19, 1
	v_or_b32_sdwa v26, v26, v27 dst_sel:DWORD dst_unused:UNUSED_PAD src0_sel:WORD_0 src1_sel:DWORD
	v_add_u32_e32 v9, v9, v20
	v_cndmask_b32_e32 v14, v26, v14, vcc
	v_cndmask_b32_e32 v15, v25, v15, vcc
	;; [unrolled: 1-line block ×6, first 2 shown]
	v_cmp_ne_u32_e32 vcc, 0, v9
	v_cndmask_b32_e32 v21, 20, v16, vcc
	v_lshrrev_b32_e32 v22, 8, v16
	v_cmp_ne_u32_e32 vcc, 1, v9
	v_cndmask_b32_e32 v22, 20, v22, vcc
	v_lshlrev_b16_e32 v22, 8, v22
	v_or_b32_sdwa v21, v21, v22 dst_sel:DWORD dst_unused:UNUSED_PAD src0_sel:BYTE_0 src1_sel:DWORD
	v_lshrrev_b32_e32 v22, 24, v16
	v_cmp_ne_u32_e32 vcc, 3, v9
	v_cndmask_b32_e32 v22, 20, v22, vcc
	v_lshrrev_b32_e32 v23, 16, v16
	v_cmp_ne_u32_e32 vcc, 2, v9
	v_lshlrev_b16_e32 v22, 8, v22
	v_cndmask_b32_e32 v23, 20, v23, vcc
	v_or_b32_sdwa v22, v23, v22 dst_sel:WORD_1 dst_unused:UNUSED_PAD src0_sel:BYTE_0 src1_sel:DWORD
	v_cmp_ne_u32_e32 vcc, 4, v9
	v_or_b32_sdwa v21, v21, v22 dst_sel:DWORD dst_unused:UNUSED_PAD src0_sel:WORD_0 src1_sel:DWORD
	v_cndmask_b32_e32 v22, 20, v18, vcc
	v_lshrrev_b32_e32 v23, 8, v18
	v_cmp_ne_u32_e32 vcc, 5, v9
	v_cndmask_b32_e32 v23, 20, v23, vcc
	v_lshlrev_b16_e32 v23, 8, v23
	v_or_b32_sdwa v22, v22, v23 dst_sel:DWORD dst_unused:UNUSED_PAD src0_sel:BYTE_0 src1_sel:DWORD
	v_lshrrev_b32_e32 v23, 24, v18
	v_cmp_ne_u32_e32 vcc, 7, v9
	v_cndmask_b32_e32 v23, 20, v23, vcc
	v_lshrrev_b32_e32 v24, 16, v18
	v_cmp_ne_u32_e32 vcc, 6, v9
	v_lshlrev_b16_e32 v23, 8, v23
	v_cndmask_b32_e32 v24, 20, v24, vcc
	v_or_b32_sdwa v23, v24, v23 dst_sel:WORD_1 dst_unused:UNUSED_PAD src0_sel:BYTE_0 src1_sel:DWORD
	v_cmp_ne_u32_e32 vcc, 8, v9
	v_or_b32_sdwa v22, v22, v23 dst_sel:DWORD dst_unused:UNUSED_PAD src0_sel:WORD_0 src1_sel:DWORD
	;; [unrolled: 16-line block ×5, first 2 shown]
	v_cndmask_b32_e32 v26, 20, v14, vcc
	v_lshrrev_b32_e32 v27, 8, v14
	v_cmp_ne_u32_e32 vcc, 21, v9
	v_cndmask_b32_e32 v27, 20, v27, vcc
	v_lshlrev_b16_e32 v27, 8, v27
	v_or_b32_sdwa v26, v26, v27 dst_sel:DWORD dst_unused:UNUSED_PAD src0_sel:BYTE_0 src1_sel:DWORD
	v_lshrrev_b32_e32 v27, 24, v14
	v_cmp_ne_u32_e32 vcc, 23, v9
	v_cndmask_b32_e32 v27, 20, v27, vcc
	v_lshrrev_b32_e32 v36, 16, v14
	v_cmp_ne_u32_e32 vcc, 22, v9
	v_and_b32_e32 v20, 0x100000, v8
	v_lshlrev_b16_e32 v27, 8, v27
	v_cndmask_b32_e32 v36, 20, v36, vcc
	v_or_b32_sdwa v27, v36, v27 dst_sel:WORD_1 dst_unused:UNUSED_PAD src0_sel:BYTE_0 src1_sel:DWORD
	v_cmp_eq_u32_e32 vcc, 0, v20
	v_bfe_u32 v20, v8, 20, 1
	v_or_b32_sdwa v26, v26, v27 dst_sel:DWORD dst_unused:UNUSED_PAD src0_sel:WORD_0 src1_sel:DWORD
	v_add_u32_e32 v9, v9, v20
	v_cndmask_b32_e32 v14, v26, v14, vcc
	v_cndmask_b32_e32 v15, v25, v15, vcc
	;; [unrolled: 1-line block ×6, first 2 shown]
	v_cmp_ne_u32_e32 vcc, 0, v9
	v_cndmask_b32_e32 v21, 21, v16, vcc
	v_lshrrev_b32_e32 v22, 8, v16
	v_cmp_ne_u32_e32 vcc, 1, v9
	v_cndmask_b32_e32 v22, 21, v22, vcc
	v_lshlrev_b16_e32 v22, 8, v22
	v_or_b32_sdwa v21, v21, v22 dst_sel:DWORD dst_unused:UNUSED_PAD src0_sel:BYTE_0 src1_sel:DWORD
	v_lshrrev_b32_e32 v22, 24, v16
	v_cmp_ne_u32_e32 vcc, 3, v9
	v_cndmask_b32_e32 v22, 21, v22, vcc
	v_lshrrev_b32_e32 v23, 16, v16
	v_cmp_ne_u32_e32 vcc, 2, v9
	v_lshlrev_b16_e32 v22, 8, v22
	v_cndmask_b32_e32 v23, 21, v23, vcc
	v_or_b32_sdwa v22, v23, v22 dst_sel:WORD_1 dst_unused:UNUSED_PAD src0_sel:BYTE_0 src1_sel:DWORD
	v_cmp_ne_u32_e32 vcc, 4, v9
	v_or_b32_sdwa v21, v21, v22 dst_sel:DWORD dst_unused:UNUSED_PAD src0_sel:WORD_0 src1_sel:DWORD
	v_cndmask_b32_e32 v22, 21, v18, vcc
	v_lshrrev_b32_e32 v23, 8, v18
	v_cmp_ne_u32_e32 vcc, 5, v9
	v_cndmask_b32_e32 v23, 21, v23, vcc
	v_lshlrev_b16_e32 v23, 8, v23
	v_or_b32_sdwa v22, v22, v23 dst_sel:DWORD dst_unused:UNUSED_PAD src0_sel:BYTE_0 src1_sel:DWORD
	v_lshrrev_b32_e32 v23, 24, v18
	v_cmp_ne_u32_e32 vcc, 7, v9
	v_cndmask_b32_e32 v23, 21, v23, vcc
	v_lshrrev_b32_e32 v24, 16, v18
	v_cmp_ne_u32_e32 vcc, 6, v9
	v_lshlrev_b16_e32 v23, 8, v23
	v_cndmask_b32_e32 v24, 21, v24, vcc
	v_or_b32_sdwa v23, v24, v23 dst_sel:WORD_1 dst_unused:UNUSED_PAD src0_sel:BYTE_0 src1_sel:DWORD
	v_cmp_ne_u32_e32 vcc, 8, v9
	v_or_b32_sdwa v22, v22, v23 dst_sel:DWORD dst_unused:UNUSED_PAD src0_sel:WORD_0 src1_sel:DWORD
	;; [unrolled: 16-line block ×5, first 2 shown]
	v_cndmask_b32_e32 v26, 21, v14, vcc
	v_lshrrev_b32_e32 v27, 8, v14
	v_cmp_ne_u32_e32 vcc, 21, v9
	v_cndmask_b32_e32 v27, 21, v27, vcc
	v_lshlrev_b16_e32 v27, 8, v27
	v_or_b32_sdwa v26, v26, v27 dst_sel:DWORD dst_unused:UNUSED_PAD src0_sel:BYTE_0 src1_sel:DWORD
	v_lshrrev_b32_e32 v27, 24, v14
	v_cmp_ne_u32_e32 vcc, 23, v9
	v_cndmask_b32_e32 v27, 21, v27, vcc
	v_lshrrev_b32_e32 v36, 16, v14
	v_cmp_ne_u32_e32 vcc, 22, v9
	v_and_b32_e32 v20, 0x200000, v8
	v_lshlrev_b16_e32 v27, 8, v27
	v_cndmask_b32_e32 v36, 21, v36, vcc
	v_or_b32_sdwa v27, v36, v27 dst_sel:WORD_1 dst_unused:UNUSED_PAD src0_sel:BYTE_0 src1_sel:DWORD
	v_cmp_eq_u32_e32 vcc, 0, v20
	v_bfe_u32 v20, v8, 21, 1
	v_or_b32_sdwa v26, v26, v27 dst_sel:DWORD dst_unused:UNUSED_PAD src0_sel:WORD_0 src1_sel:DWORD
	v_add_u32_e32 v9, v9, v20
	v_cndmask_b32_e32 v14, v26, v14, vcc
	v_cndmask_b32_e32 v15, v25, v15, vcc
	;; [unrolled: 1-line block ×6, first 2 shown]
	v_cmp_ne_u32_e32 vcc, 0, v9
	v_cndmask_b32_e32 v21, 22, v16, vcc
	v_lshrrev_b32_e32 v22, 8, v16
	v_cmp_ne_u32_e32 vcc, 1, v9
	v_cndmask_b32_e32 v22, 22, v22, vcc
	v_lshlrev_b16_e32 v22, 8, v22
	v_or_b32_sdwa v21, v21, v22 dst_sel:DWORD dst_unused:UNUSED_PAD src0_sel:BYTE_0 src1_sel:DWORD
	v_lshrrev_b32_e32 v22, 24, v16
	v_cmp_ne_u32_e32 vcc, 3, v9
	v_cndmask_b32_e32 v22, 22, v22, vcc
	v_lshrrev_b32_e32 v23, 16, v16
	v_cmp_ne_u32_e32 vcc, 2, v9
	v_lshlrev_b16_e32 v22, 8, v22
	v_cndmask_b32_e32 v23, 22, v23, vcc
	v_or_b32_sdwa v22, v23, v22 dst_sel:WORD_1 dst_unused:UNUSED_PAD src0_sel:BYTE_0 src1_sel:DWORD
	v_cmp_ne_u32_e32 vcc, 4, v9
	v_or_b32_sdwa v21, v21, v22 dst_sel:DWORD dst_unused:UNUSED_PAD src0_sel:WORD_0 src1_sel:DWORD
	v_cndmask_b32_e32 v22, 22, v18, vcc
	v_lshrrev_b32_e32 v23, 8, v18
	v_cmp_ne_u32_e32 vcc, 5, v9
	v_cndmask_b32_e32 v23, 22, v23, vcc
	v_lshlrev_b16_e32 v23, 8, v23
	v_or_b32_sdwa v22, v22, v23 dst_sel:DWORD dst_unused:UNUSED_PAD src0_sel:BYTE_0 src1_sel:DWORD
	v_lshrrev_b32_e32 v23, 24, v18
	v_cmp_ne_u32_e32 vcc, 7, v9
	v_cndmask_b32_e32 v23, 22, v23, vcc
	v_lshrrev_b32_e32 v24, 16, v18
	v_cmp_ne_u32_e32 vcc, 6, v9
	v_lshlrev_b16_e32 v23, 8, v23
	v_cndmask_b32_e32 v24, 22, v24, vcc
	v_or_b32_sdwa v23, v24, v23 dst_sel:WORD_1 dst_unused:UNUSED_PAD src0_sel:BYTE_0 src1_sel:DWORD
	v_cmp_ne_u32_e32 vcc, 8, v9
	v_or_b32_sdwa v22, v22, v23 dst_sel:DWORD dst_unused:UNUSED_PAD src0_sel:WORD_0 src1_sel:DWORD
	;; [unrolled: 16-line block ×5, first 2 shown]
	v_cndmask_b32_e32 v26, 22, v14, vcc
	v_lshrrev_b32_e32 v27, 8, v14
	v_cmp_ne_u32_e32 vcc, 21, v9
	v_cndmask_b32_e32 v27, 22, v27, vcc
	v_lshlrev_b16_e32 v27, 8, v27
	v_or_b32_sdwa v26, v26, v27 dst_sel:DWORD dst_unused:UNUSED_PAD src0_sel:BYTE_0 src1_sel:DWORD
	v_lshrrev_b32_e32 v27, 24, v14
	v_cmp_ne_u32_e32 vcc, 23, v9
	v_cndmask_b32_e32 v27, 22, v27, vcc
	v_lshrrev_b32_e32 v36, 16, v14
	v_cmp_ne_u32_e32 vcc, 22, v9
	v_and_b32_e32 v20, 0x400000, v8
	v_lshlrev_b16_e32 v27, 8, v27
	v_cndmask_b32_e32 v36, 22, v36, vcc
	v_or_b32_sdwa v27, v36, v27 dst_sel:WORD_1 dst_unused:UNUSED_PAD src0_sel:BYTE_0 src1_sel:DWORD
	v_cmp_eq_u32_e32 vcc, 0, v20
	v_bfe_u32 v20, v8, 22, 1
	v_or_b32_sdwa v26, v26, v27 dst_sel:DWORD dst_unused:UNUSED_PAD src0_sel:WORD_0 src1_sel:DWORD
	v_add_u32_e32 v9, v9, v20
	v_cndmask_b32_e32 v14, v26, v14, vcc
	v_cndmask_b32_e32 v15, v25, v15, vcc
	;; [unrolled: 1-line block ×6, first 2 shown]
	v_cmp_ne_u32_e32 vcc, 0, v9
	v_cndmask_b32_e32 v21, 23, v16, vcc
	v_lshrrev_b32_e32 v22, 8, v16
	v_cmp_ne_u32_e32 vcc, 1, v9
	v_cndmask_b32_e32 v22, 23, v22, vcc
	v_lshlrev_b16_e32 v22, 8, v22
	v_or_b32_sdwa v21, v21, v22 dst_sel:DWORD dst_unused:UNUSED_PAD src0_sel:BYTE_0 src1_sel:DWORD
	v_lshrrev_b32_e32 v22, 24, v16
	v_cmp_ne_u32_e32 vcc, 3, v9
	v_cndmask_b32_e32 v22, 23, v22, vcc
	v_lshrrev_b32_e32 v23, 16, v16
	v_cmp_ne_u32_e32 vcc, 2, v9
	v_lshlrev_b16_e32 v22, 8, v22
	v_cndmask_b32_e32 v23, 23, v23, vcc
	v_or_b32_sdwa v22, v23, v22 dst_sel:WORD_1 dst_unused:UNUSED_PAD src0_sel:BYTE_0 src1_sel:DWORD
	v_cmp_ne_u32_e32 vcc, 4, v9
	v_or_b32_sdwa v21, v21, v22 dst_sel:DWORD dst_unused:UNUSED_PAD src0_sel:WORD_0 src1_sel:DWORD
	v_cndmask_b32_e32 v22, 23, v18, vcc
	v_lshrrev_b32_e32 v23, 8, v18
	v_cmp_ne_u32_e32 vcc, 5, v9
	v_cndmask_b32_e32 v23, 23, v23, vcc
	v_lshlrev_b16_e32 v23, 8, v23
	v_or_b32_sdwa v22, v22, v23 dst_sel:DWORD dst_unused:UNUSED_PAD src0_sel:BYTE_0 src1_sel:DWORD
	v_lshrrev_b32_e32 v23, 24, v18
	v_cmp_ne_u32_e32 vcc, 7, v9
	v_cndmask_b32_e32 v23, 23, v23, vcc
	v_lshrrev_b32_e32 v24, 16, v18
	v_cmp_ne_u32_e32 vcc, 6, v9
	v_lshlrev_b16_e32 v23, 8, v23
	v_cndmask_b32_e32 v24, 23, v24, vcc
	v_or_b32_sdwa v23, v24, v23 dst_sel:WORD_1 dst_unused:UNUSED_PAD src0_sel:BYTE_0 src1_sel:DWORD
	v_cmp_ne_u32_e32 vcc, 8, v9
	v_or_b32_sdwa v22, v22, v23 dst_sel:DWORD dst_unused:UNUSED_PAD src0_sel:WORD_0 src1_sel:DWORD
	;; [unrolled: 16-line block ×5, first 2 shown]
	v_cndmask_b32_e32 v26, 23, v14, vcc
	v_lshrrev_b32_e32 v27, 8, v14
	v_cmp_ne_u32_e32 vcc, 21, v9
	v_cndmask_b32_e32 v27, 23, v27, vcc
	v_lshlrev_b16_e32 v27, 8, v27
	v_or_b32_sdwa v26, v26, v27 dst_sel:DWORD dst_unused:UNUSED_PAD src0_sel:BYTE_0 src1_sel:DWORD
	v_lshrrev_b32_e32 v27, 24, v14
	v_cmp_ne_u32_e32 vcc, 23, v9
	v_cndmask_b32_e32 v27, 23, v27, vcc
	v_lshrrev_b32_e32 v36, 16, v14
	v_cmp_ne_u32_e32 vcc, 22, v9
	v_lshlrev_b16_e32 v27, 8, v27
	v_cndmask_b32_e32 v36, 23, v36, vcc
	v_and_b32_e32 v20, 0x800000, v8
	v_or_b32_sdwa v27, v36, v27 dst_sel:WORD_1 dst_unused:UNUSED_PAD src0_sel:BYTE_0 src1_sel:DWORD
	v_mul_f64 v[36:37], v[10:11], 0.5
	v_mul_f64 v[38:39], v[12:13], 0.5
	v_or_b32_sdwa v26, v26, v27 dst_sel:DWORD dst_unused:UNUSED_PAD src0_sel:WORD_0 src1_sel:DWORD
	v_cmp_eq_u32_e32 vcc, 0, v20
	v_cndmask_b32_e32 v41, v26, v14, vcc
	v_cndmask_b32_e32 v40, v25, v15, vcc
	v_lshrrev_b64 v[46:47], 24, v[40:41]
	v_cndmask_b32_e32 v43, v24, v17, vcc
	v_cndmask_b32_e32 v42, v23, v19, vcc
	v_lshrrev_b64 v[47:48], 24, v[42:43]
	;; [unrolled: 3-line block ×3, first 2 shown]
	v_bfe_u32 v8, v8, 23, 1
	v_add_u32_e32 v49, v9, v8
	v_mov_b32_e32 v14, 0
	v_mov_b32_e32 v12, 0
	;; [unrolled: 1-line block ×4, first 2 shown]
	v_lshrrev_b32_e32 v68, 24, v41
	v_lshrrev_b32_e32 v69, 16, v41
	;; [unrolled: 1-line block ×15, first 2 shown]
	v_mov_b32_e32 v15, 0
	v_mov_b32_e32 v13, 0
	;; [unrolled: 1-line block ×4, first 2 shown]
	v_cmp_ne_u32_e32 vcc, 0, v49
	s_and_saveexec_b64 s[6:7], vcc
	s_cbranch_execz .LBB1_288
; %bb.129:
	v_mov_b32_e32 v51, 0
	v_mov_b32_e32 v8, 0
	s_mov_b32 s10, 0
	s_mov_b32 s12, 0x55555555
	v_mov_b32_e32 v10, 0
	v_mov_b32_e32 v12, 0
	;; [unrolled: 1-line block ×3, first 2 shown]
	v_add_u32_e32 v83, 0xa0, v67
	v_mov_b32_e32 v50, v51
	v_add_u32_e32 v84, 0xa8, v67
	v_add_u32_e32 v85, 0xb0, v67
	;; [unrolled: 1-line block ×4, first 2 shown]
	v_add_u32_e32 v88, -8, v67
	v_add_u32_e32 v89, 0xa8, v67
	v_add_u32_e32 v90, 24, v67
	;; [unrolled: 1-line block ×3, first 2 shown]
	v_mov_b32_e32 v9, 0
	s_mov_b64 s[8:9], 0
	s_mov_b32 s11, 0x3fd00000
	s_mov_b32 s13, 0x3fd55555
	v_mov_b32_e32 v92, 0xd0
	v_mov_b32_e32 v93, 3
	;; [unrolled: 1-line block ×6, first 2 shown]
	s_mov_b64 s[14:15], 0
	s_branch .LBB1_131
.LBB1_130:                              ;   in Loop: Header=BB1_131 Depth=1
	s_or_b64 exec, exec, s[4:5]
	s_add_u32 s14, s14, 1
	s_addc_u32 s15, s15, 0
	v_cmp_eq_u64_e32 vcc, s[14:15], v[49:50]
	s_or_b64 s[8:9], vcc, s[8:9]
	s_andn2_b64 exec, exec, s[8:9]
	s_cbranch_execz .LBB1_287
.LBB1_131:                              ; =>This Loop Header: Depth=1
                                        ;     Child Loop BB1_190 Depth 2
                                        ;     Child Loop BB1_204 Depth 2
	;; [unrolled: 1-line block ×11, first 2 shown]
	s_cmp_eq_u32 s14, 1
	s_cselect_b64 vcc, -1, 0
	s_cmp_eq_u32 s14, 2
	v_cndmask_b32_e32 v16, v44, v80, vcc
	s_cselect_b64 vcc, -1, 0
	s_cmp_eq_u32 s14, 3
	v_cndmask_b32_e32 v16, v16, v77, vcc
	;; [unrolled: 3-line block ×22, first 2 shown]
	s_cselect_b64 vcc, -1, 0
	v_cndmask_b32_e32 v23, v16, v68, vcc
	v_bfe_u32 v20, v23, 2, 6
	v_cmp_lt_i32_e32 vcc, 1, v20
                                        ; implicit-def: $vgpr24
                                        ; implicit-def: $vgpr16
                                        ; implicit-def: $vgpr21
                                        ; implicit-def: $vgpr17
                                        ; implicit-def: $vgpr22
                                        ; implicit-def: $vgpr18
                                        ; implicit-def: $vgpr19
	s_and_saveexec_b64 s[4:5], vcc
	s_xor_b64 s[4:5], exec, s[4:5]
	s_cbranch_execz .LBB1_143
; %bb.132:                              ;   in Loop: Header=BB1_131 Depth=1
	v_cmp_lt_i32_e32 vcc, 2, v20
                                        ; implicit-def: $vgpr24
                                        ; implicit-def: $vgpr16
                                        ; implicit-def: $vgpr21
                                        ; implicit-def: $vgpr17
                                        ; implicit-def: $vgpr22
                                        ; implicit-def: $vgpr18
                                        ; implicit-def: $vgpr19
	s_and_saveexec_b64 s[16:17], vcc
	s_xor_b64 s[16:17], exec, s[16:17]
	s_cbranch_execz .LBB1_140
; %bb.133:                              ;   in Loop: Header=BB1_131 Depth=1
	v_cmp_lt_i32_e32 vcc, 3, v20
                                        ; implicit-def: $vgpr24
                                        ; implicit-def: $vgpr16
                                        ; implicit-def: $vgpr21
                                        ; implicit-def: $vgpr17
                                        ; implicit-def: $vgpr22
                                        ; implicit-def: $vgpr18
                                        ; implicit-def: $vgpr19
	s_and_saveexec_b64 s[18:19], vcc
	s_xor_b64 s[18:19], exec, s[18:19]
	s_cbranch_execz .LBB1_137
; %bb.134:                              ;   in Loop: Header=BB1_131 Depth=1
	v_cmp_ne_u32_e32 vcc, 4, v20
	s_and_saveexec_b64 s[20:21], vcc
	s_xor_b64 s[20:21], exec, s[20:21]
	s_or_saveexec_b64 s[20:21], s[20:21]
	v_mov_b32_e32 v20, 4
	v_mov_b32_e32 v22, 6
	;; [unrolled: 1-line block ×8, first 2 shown]
	s_xor_b64 exec, exec, s[20:21]
; %bb.135:                              ;   in Loop: Header=BB1_131 Depth=1
	v_mov_b32_e32 v20, 0
	v_mov_b32_e32 v22, 1
	;; [unrolled: 1-line block ×8, first 2 shown]
; %bb.136:                              ;   in Loop: Header=BB1_131 Depth=1
	s_or_b64 exec, exec, s[20:21]
.LBB1_137:                              ;   in Loop: Header=BB1_131 Depth=1
	s_andn2_saveexec_b64 s[18:19], s[18:19]
; %bb.138:                              ;   in Loop: Header=BB1_131 Depth=1
	v_mov_b32_e32 v20, 2
	v_mov_b32_e32 v22, 3
	;; [unrolled: 1-line block ×8, first 2 shown]
; %bb.139:                              ;   in Loop: Header=BB1_131 Depth=1
	s_or_b64 exec, exec, s[18:19]
.LBB1_140:                              ;   in Loop: Header=BB1_131 Depth=1
	s_andn2_saveexec_b64 s[16:17], s[16:17]
; %bb.141:                              ;   in Loop: Header=BB1_131 Depth=1
	v_mov_b32_e32 v20, 0
	v_mov_b32_e32 v22, 4
	;; [unrolled: 1-line block ×8, first 2 shown]
; %bb.142:                              ;   in Loop: Header=BB1_131 Depth=1
	s_or_b64 exec, exec, s[16:17]
.LBB1_143:                              ;   in Loop: Header=BB1_131 Depth=1
	s_andn2_saveexec_b64 s[4:5], s[4:5]
	s_cbranch_execz .LBB1_147
; %bb.144:                              ;   in Loop: Header=BB1_131 Depth=1
	v_cmp_lt_i32_e32 vcc, 0, v20
	v_mov_b32_e32 v22, 2
	v_mov_b32_e32 v21, 6
	v_mov_b32_e32 v24, 4
	v_mov_b32_e32 v19, 0xd0
	v_mov_b32_e32 v16, s38
	v_mov_b32_e32 v17, s34
	v_mov_b32_e32 v18, s35
	s_and_saveexec_b64 s[16:17], vcc
; %bb.145:                              ;   in Loop: Header=BB1_131 Depth=1
	v_mov_b32_e32 v20, 1
	v_mov_b32_e32 v22, 5
	;; [unrolled: 1-line block ×8, first 2 shown]
; %bb.146:                              ;   in Loop: Header=BB1_131 Depth=1
	s_or_b64 exec, exec, s[16:17]
.LBB1_147:                              ;   in Loop: Header=BB1_131 Depth=1
	s_or_b64 exec, exec, s[4:5]
	buffer_load_dword v25, v19, s[0:3], 0 offen
	buffer_load_dword v26, v19, s[0:3], 0 offen offset:4
	buffer_load_dword v52, v18, s[0:3], 0 offen
	buffer_load_dword v53, v18, s[0:3], 0 offen offset:4
	v_lshl_add_u32 v27, v20, 3, v92
	v_lshl_add_u32 v66, v22, 3, v92
	buffer_load_dword v18, v27, s[0:3], 0 offen offset:64
	buffer_load_dword v19, v27, s[0:3], 0 offen offset:68
	;; [unrolled: 1-line block ×4, first 2 shown]
	buffer_load_dword v56, v17, s[0:3], 0 offen
	buffer_load_dword v57, v17, s[0:3], 0 offen offset:4
	v_lshl_add_u32 v99, v21, 3, v92
	buffer_load_dword v58, v99, s[0:3], 0 offen offset:64
	buffer_load_dword v59, v99, s[0:3], 0 offen offset:68
	;; [unrolled: 1-line block ×6, first 2 shown]
	buffer_load_dword v64, v16, s[0:3], 0 offen
	buffer_load_dword v65, v16, s[0:3], 0 offen offset:4
	v_lshl_add_u32 v27, v24, 3, v92
	buffer_load_dword v16, v27, s[0:3], 0 offen offset:64
	buffer_load_dword v17, v27, s[0:3], 0 offen offset:68
	;; [unrolled: 1-line block ×6, first 2 shown]
	s_waitcnt vmcnt(20)
	v_add_f64 v[25:26], v[25:26], v[52:53]
	s_waitcnt vmcnt(16)
	v_add_f64 v[18:19], v[18:19], v[54:55]
	;; [unrolled: 2-line block ×3, first 2 shown]
	v_add_f64 v[25:26], v[25:26], v[56:57]
	v_add_f64 v[18:19], v[18:19], v[58:59]
	s_waitcnt vmcnt(6)
	v_add_f64 v[25:26], v[25:26], v[64:65]
	s_waitcnt vmcnt(4)
	v_add_f64 v[16:17], v[18:19], v[16:17]
	s_waitcnt vmcnt(1)
	v_add_f64 v[18:19], v[52:53], v[97:98]
	v_fma_f64 v[25:26], v[25:26], s[10:11], -v[0:1]
	v_fma_f64 v[16:17], v[16:17], s[10:11], -v[4:5]
	s_waitcnt vmcnt(0)
	v_add_f64 v[52:53], v[18:19], v[95:96]
	v_mul_f64 v[18:19], v[32:33], v[25:26]
	v_mul_f64 v[16:17], v[30:31], v[16:17]
	v_fma_f64 v[25:26], v[52:53], s[10:11], -v[6:7]
	ds_write2_b64 v67, v[18:19], v[16:17] offset0:1 offset1:11
	ds_write_b64 v67, v[25:26] offset:168
	v_and_b32_sdwa v25, v23, v93 dst_sel:DWORD dst_unused:UNUSED_PAD src0_sel:BYTE_0 src1_sel:DWORD
	v_cmp_lt_i32_e32 vcc, 1, v25
                                        ; implicit-def: $vgpr23
	s_and_saveexec_b64 s[4:5], vcc
	s_xor_b64 s[4:5], exec, s[4:5]
	s_cbranch_execz .LBB1_153
; %bb.148:                              ;   in Loop: Header=BB1_131 Depth=1
	v_cmp_lt_i32_e32 vcc, 2, v25
	s_and_saveexec_b64 s[16:17], vcc
	s_xor_b64 s[16:17], exec, s[16:17]
; %bb.149:                              ;   in Loop: Header=BB1_131 Depth=1
                                        ; implicit-def: $vgpr21
; %bb.150:                              ;   in Loop: Header=BB1_131 Depth=1
	s_or_saveexec_b64 s[16:17], s[16:17]
	v_mov_b32_e32 v23, v24
	s_xor_b64 exec, exec, s[16:17]
; %bb.151:                              ;   in Loop: Header=BB1_131 Depth=1
	v_mov_b32_e32 v23, v21
	v_mov_b32_e32 v20, v24
; %bb.152:                              ;   in Loop: Header=BB1_131 Depth=1
	s_or_b64 exec, exec, s[16:17]
                                        ; implicit-def: $vgpr22
                                        ; implicit-def: $vgpr21
                                        ; implicit-def: $vgpr25
.LBB1_153:                              ;   in Loop: Header=BB1_131 Depth=1
	s_andn2_saveexec_b64 s[4:5], s[4:5]
	s_cbranch_execz .LBB1_157
; %bb.154:                              ;   in Loop: Header=BB1_131 Depth=1
	v_cmp_eq_u32_e32 vcc, 1, v25
	s_and_saveexec_b64 s[16:17], vcc
; %bb.155:                              ;   in Loop: Header=BB1_131 Depth=1
	v_mov_b32_e32 v20, v22
	v_mov_b32_e32 v22, v21
; %bb.156:                              ;   in Loop: Header=BB1_131 Depth=1
	s_or_b64 exec, exec, s[16:17]
	v_mov_b32_e32 v23, v20
	v_mov_b32_e32 v20, v22
.LBB1_157:                              ;   in Loop: Header=BB1_131 Depth=1
	s_or_b64 exec, exec, s[4:5]
	v_lshl_add_u32 v56, v23, 3, v92
	v_lshl_add_u32 v57, v20, 3, v92
	buffer_load_dword v20, v56, s[0:3], 0 offen
	buffer_load_dword v21, v56, s[0:3], 0 offen offset:4
	buffer_load_dword v22, v57, s[0:3], 0 offen
	buffer_load_dword v25, v56, s[0:3], 0 offen offset:68
	buffer_load_dword v26, v56, s[0:3], 0 offen offset:128
	;; [unrolled: 1-line block ×9, first 2 shown]
	s_mov_b64 s[4:5], 0
                                        ; implicit-def: $vgpr60
	s_waitcnt vmcnt(10)
	v_add_f64 v[20:21], v[20:21], -v[0:1]
	s_waitcnt vmcnt(6)
	v_add_f64 v[24:25], v[24:25], -v[4:5]
	;; [unrolled: 2-line block ×4, first 2 shown]
	v_mul_f64 v[52:53], v[32:33], v[20:21]
	v_mul_f64 v[56:57], v[30:31], v[24:25]
	;; [unrolled: 1-line block ×3, first 2 shown]
	s_waitcnt vmcnt(1)
	v_add_f64 v[24:25], v[26:27], -v[6:7]
	s_waitcnt vmcnt(0)
	v_add_f64 v[26:27], v[54:55], -v[6:7]
	v_mul_f64 v[22:23], v[30:31], v[58:59]
                                        ; implicit-def: $vgpr54_vgpr55
	ds_write2_b64 v67, v[52:53], v[20:21] offset1:2
	ds_write2_b64 v67, v[56:57], v[22:23] offset0:10 offset1:12
	ds_write2_b64 v67, v[24:25], v[26:27] offset0:20 offset1:22
	v_cmp_ngt_f64_e32 vcc, 1.0, v[56:57]
	s_and_saveexec_b64 s[16:17], vcc
	s_xor_b64 s[16:17], exec, s[16:17]
	s_cbranch_execz .LBB1_161
; %bb.158:                              ;   in Loop: Header=BB1_131 Depth=1
	v_cmp_gt_f64_e32 vcc, 1.0, v[22:23]
	v_mov_b32_e32 v60, 9
                                        ; implicit-def: $vgpr54_vgpr55
	s_and_saveexec_b64 s[18:19], vcc
	s_xor_b64 s[18:19], exec, s[18:19]
	s_cbranch_execz .LBB1_160
; %bb.159:                              ;   in Loop: Header=BB1_131 Depth=1
	v_add_f64 v[54:55], v[56:57], -v[22:23]
	v_add_f64 v[56:57], -v[22:23], 1.0
	v_add_f64 v[52:53], v[52:53], -v[20:21]
	s_mov_b64 s[4:5], exec
	v_div_scale_f64 v[58:59], s[20:21], v[54:55], v[54:55], v[56:57]
	v_rcp_f64_e32 v[60:61], v[58:59]
	v_fma_f64 v[62:63], -v[58:59], v[60:61], 1.0
	v_fma_f64 v[60:61], v[60:61], v[62:63], v[60:61]
	v_div_scale_f64 v[62:63], vcc, v[56:57], v[54:55], v[56:57]
	v_fma_f64 v[64:65], -v[58:59], v[60:61], 1.0
	v_fma_f64 v[60:61], v[60:61], v[64:65], v[60:61]
	v_mul_f64 v[64:65], v[62:63], v[60:61]
	v_fma_f64 v[58:59], -v[58:59], v[64:65], v[62:63]
	v_div_fmas_f64 v[58:59], v[58:59], v[60:61], v[64:65]
	v_mov_b32_e32 v60, 8
	v_div_fixup_f64 v[54:55], v[58:59], v[54:55], v[56:57]
	v_fma_f64 v[56:57], v[52:53], v[54:55], v[20:21]
	v_mov_b32_e32 v52, v94
	ds_write2_b64 v67, v[56:57], v[51:52] offset0:9 offset1:19
.LBB1_160:                              ;   in Loop: Header=BB1_131 Depth=1
	s_or_b64 exec, exec, s[18:19]
	s_and_b64 s[4:5], s[4:5], exec
                                        ; implicit-def: $vgpr52_vgpr53
                                        ; implicit-def: $vgpr56_vgpr57
.LBB1_161:                              ;   in Loop: Header=BB1_131 Depth=1
	s_or_saveexec_b64 s[16:17], s[16:17]
	v_mov_b32_e32 v59, v27
	v_mov_b32_e32 v61, 9
	;; [unrolled: 1-line block ×3, first 2 shown]
	s_xor_b64 exec, exec, s[16:17]
	s_cbranch_execz .LBB1_165
; %bb.162:                              ;   in Loop: Header=BB1_131 Depth=1
	v_cmp_le_f64_e32 vcc, 1.0, v[22:23]
	v_mov_b32_e32 v61, 8
	s_mov_b64 s[20:21], s[4:5]
	v_mov_b32_e32 v60, 8
	ds_write2_b64 v67, v[52:53], v[56:57] offset0:9 offset1:19
	ds_write_b64 v67, v[24:25] offset:232
                                        ; implicit-def: $vgpr54_vgpr55
	s_and_saveexec_b64 s[18:19], vcc
	s_cbranch_execz .LBB1_164
; %bb.163:                              ;   in Loop: Header=BB1_131 Depth=1
	v_add_f64 v[54:55], v[22:23], -v[56:57]
	v_add_f64 v[56:57], -v[56:57], 1.0
	v_mov_b32_e32 v60, 7
	v_div_scale_f64 v[58:59], s[20:21], v[54:55], v[54:55], v[56:57]
	s_or_b64 s[20:21], s[4:5], exec
	v_rcp_f64_e32 v[62:63], v[58:59]
	v_fma_f64 v[64:65], -v[58:59], v[62:63], 1.0
	v_fma_f64 v[62:63], v[62:63], v[64:65], v[62:63]
	v_div_scale_f64 v[64:65], vcc, v[56:57], v[54:55], v[56:57]
	v_fma_f64 v[95:96], -v[58:59], v[62:63], 1.0
	v_fma_f64 v[62:63], v[62:63], v[95:96], v[62:63]
	v_mul_f64 v[95:96], v[64:65], v[62:63]
	v_fma_f64 v[58:59], -v[58:59], v[95:96], v[64:65]
	v_div_fmas_f64 v[58:59], v[58:59], v[62:63], v[95:96]
	v_add_f64 v[62:63], v[20:21], -v[52:53]
	v_div_fixup_f64 v[54:55], v[58:59], v[54:55], v[56:57]
	v_fma_f64 v[56:57], v[62:63], v[54:55], v[52:53]
	v_mov_b32_e32 v52, v94
	ds_write2_b64 v67, v[56:57], v[51:52] offset0:8 offset1:18
.LBB1_164:                              ;   in Loop: Header=BB1_131 Depth=1
	s_or_b64 exec, exec, s[18:19]
	v_mov_b32_e32 v59, v25
	s_andn2_b64 s[4:5], s[4:5], exec
	s_and_b64 s[18:19], s[20:21], exec
	v_mov_b32_e32 v58, v24
	v_mov_b32_e32 v24, v26
	s_or_b64 s[4:5], s[4:5], s[18:19]
	v_mov_b32_e32 v25, v27
.LBB1_165:                              ;   in Loop: Header=BB1_131 Depth=1
	s_or_b64 exec, exec, s[16:17]
	s_and_saveexec_b64 s[16:17], s[4:5]
	s_cbranch_execz .LBB1_167
; %bb.166:                              ;   in Loop: Header=BB1_131 Depth=1
	v_add_f64 v[24:25], v[24:25], -v[58:59]
	v_lshl_add_u32 v26, v61, 3, v67
	v_fma_f64 v[24:25], v[54:55], v[24:25], v[58:59]
	ds_write_b64 v26, v[24:25] offset:160
.LBB1_167:                              ;   in Loop: Header=BB1_131 Depth=1
	s_or_b64 exec, exec, s[16:17]
	v_cmp_ngt_f64_e32 vcc, 1.0, v[22:23]
	s_mov_b64 s[4:5], 0
                                        ; implicit-def: $vgpr24_vgpr25
                                        ; implicit-def: $vgpr26_vgpr27
	s_and_saveexec_b64 s[16:17], vcc
	s_xor_b64 s[16:17], exec, s[16:17]
	s_cbranch_execz .LBB1_171
; %bb.168:                              ;   in Loop: Header=BB1_131 Depth=1
	v_cmp_gt_f64_e32 vcc, 1.0, v[16:17]
                                        ; implicit-def: $vgpr24_vgpr25
                                        ; implicit-def: $vgpr26_vgpr27
	s_and_saveexec_b64 s[18:19], vcc
	s_cbranch_execz .LBB1_170
; %bb.169:                              ;   in Loop: Header=BB1_131 Depth=1
	v_add_f64 v[22:23], v[22:23], -v[16:17]
	v_add_f64 v[24:25], -v[16:17], 1.0
	v_add_f64 v[20:21], v[20:21], -v[18:19]
	s_mov_b64 s[4:5], exec
	v_div_scale_f64 v[26:27], s[20:21], v[22:23], v[22:23], v[24:25]
	v_rcp_f64_e32 v[52:53], v[26:27]
	v_fma_f64 v[54:55], -v[26:27], v[52:53], 1.0
	v_fma_f64 v[52:53], v[52:53], v[54:55], v[52:53]
	v_div_scale_f64 v[54:55], vcc, v[24:25], v[22:23], v[24:25]
	v_fma_f64 v[56:57], -v[26:27], v[52:53], 1.0
	v_fma_f64 v[52:53], v[52:53], v[56:57], v[52:53]
	v_mul_f64 v[56:57], v[54:55], v[52:53]
	v_fma_f64 v[26:27], -v[26:27], v[56:57], v[54:55]
	v_div_fmas_f64 v[26:27], v[26:27], v[52:53], v[56:57]
	v_mov_b32_e32 v52, v94
	v_div_fixup_f64 v[24:25], v[26:27], v[22:23], v[24:25]
	v_fma_f64 v[26:27], v[24:25], v[20:21], v[18:19]
	v_lshl_add_u32 v18, v60, 3, v67
	ds_write_b64 v18, v[51:52] offset:80
.LBB1_170:                              ;   in Loop: Header=BB1_131 Depth=1
	s_or_b64 exec, exec, s[18:19]
	s_and_b64 s[4:5], s[4:5], exec
                                        ; implicit-def: $vgpr20_vgpr21
                                        ; implicit-def: $vgpr22_vgpr23
.LBB1_171:                              ;   in Loop: Header=BB1_131 Depth=1
	s_or_saveexec_b64 s[16:17], s[16:17]
	v_mov_b32_e32 v19, 2
	v_mov_b32_e32 v18, -1
	v_mov_b32_e32 v52, v84
	v_mov_b32_e32 v53, v60
	s_xor_b64 exec, exec, s[16:17]
	s_cbranch_execz .LBB1_175
; %bb.172:                              ;   in Loop: Header=BB1_131 Depth=1
	v_lshl_add_u32 v53, v60, 3, v67
	ds_write2_b64 v53, v[20:21], v[22:23] offset1:10
	ds_read2_b64 v[16:19], v67 offset0:11 offset1:22
	s_mov_b64 s[20:21], s[4:5]
                                        ; implicit-def: $vgpr24_vgpr25
                                        ; implicit-def: $vgpr26_vgpr27
	s_waitcnt lgkmcnt(0)
	v_cmp_le_f64_e32 vcc, 1.0, v[16:17]
	ds_write_b64 v53, v[18:19] offset:160
	s_and_saveexec_b64 s[18:19], vcc
	s_cbranch_execz .LBB1_174
; %bb.173:                              ;   in Loop: Header=BB1_131 Depth=1
	ds_read_b64 v[22:23], v67 offset:96
	ds_read2_b64 v[18:21], v67 offset0:1 offset1:2
	v_mov_b32_e32 v52, v94
	ds_write_b64 v53, v[51:52] offset:72
	s_waitcnt lgkmcnt(2)
	v_add_f64 v[24:25], v[16:17], -v[22:23]
	v_add_f64 v[22:23], -v[22:23], 1.0
	s_waitcnt lgkmcnt(1)
	v_add_f64 v[18:19], v[18:19], -v[20:21]
	v_div_scale_f64 v[26:27], s[20:21], v[24:25], v[24:25], v[22:23]
	s_or_b64 s[20:21], s[4:5], exec
	v_rcp_f64_e32 v[54:55], v[26:27]
	v_fma_f64 v[56:57], -v[26:27], v[54:55], 1.0
	v_fma_f64 v[54:55], v[54:55], v[56:57], v[54:55]
	v_div_scale_f64 v[56:57], vcc, v[22:23], v[24:25], v[22:23]
	v_fma_f64 v[58:59], -v[26:27], v[54:55], 1.0
	v_fma_f64 v[54:55], v[54:55], v[58:59], v[54:55]
	v_mul_f64 v[58:59], v[56:57], v[54:55]
	v_fma_f64 v[26:27], -v[26:27], v[58:59], v[56:57]
	v_div_fmas_f64 v[26:27], v[26:27], v[54:55], v[58:59]
	v_div_fixup_f64 v[24:25], v[26:27], v[24:25], v[22:23]
	v_fma_f64 v[26:27], v[24:25], v[18:19], v[20:21]
.LBB1_174:                              ;   in Loop: Header=BB1_131 Depth=1
	s_or_b64 exec, exec, s[18:19]
	s_andn2_b64 s[4:5], s[4:5], exec
	s_and_b64 s[18:19], s[20:21], exec
	v_add_u32_e32 v53, -1, v60
	v_mov_b32_e32 v19, 1
	v_mov_b32_e32 v18, -2
	s_or_b64 s[4:5], s[4:5], s[18:19]
	v_mov_b32_e32 v52, v85
.LBB1_175:                              ;   in Loop: Header=BB1_131 Depth=1
	s_or_b64 exec, exec, s[16:17]
	s_and_saveexec_b64 s[16:17], s[4:5]
	s_cbranch_execz .LBB1_177
; %bb.176:                              ;   in Loop: Header=BB1_131 Depth=1
	v_lshl_add_u32 v53, v53, 3, v67
	ds_write_b64 v53, v[26:27]
	ds_read_b64 v[20:21], v52
	v_lshl_add_u32 v16, v19, 3, v67
	ds_read_b64 v[22:23], v16 offset:160
	ds_read_b64 v[16:17], v67 offset:88
	s_waitcnt lgkmcnt(1)
	v_add_f64 v[22:23], v[22:23], -v[20:21]
	v_fma_f64 v[19:20], v[24:25], v[22:23], v[20:21]
	ds_write_b64 v53, v[19:20] offset:160
	v_add_u32_e32 v53, v18, v60
.LBB1_177:                              ;   in Loop: Header=BB1_131 Depth=1
	s_or_b64 exec, exec, s[16:17]
	s_waitcnt lgkmcnt(1)
	v_cmp_ngt_f64_e32 vcc, 1.0, v[16:17]
	s_mov_b64 s[4:5], 0
                                        ; implicit-def: $vgpr18_vgpr19
                                        ; implicit-def: $vgpr20_vgpr21
	s_and_saveexec_b64 s[16:17], vcc
	s_xor_b64 s[16:17], exec, s[16:17]
	s_cbranch_execz .LBB1_181
; %bb.178:                              ;   in Loop: Header=BB1_131 Depth=1
	ds_read_b64 v[22:23], v67 offset:80
                                        ; implicit-def: $vgpr18_vgpr19
                                        ; implicit-def: $vgpr20_vgpr21
	s_waitcnt lgkmcnt(0)
	v_cmp_gt_f64_e32 vcc, 1.0, v[22:23]
	s_and_saveexec_b64 s[18:19], vcc
	s_cbranch_execz .LBB1_180
; %bb.179:                              ;   in Loop: Header=BB1_131 Depth=1
	v_add_f64 v[16:17], v[16:17], -v[22:23]
	v_add_f64 v[18:19], -v[22:23], 1.0
	s_mov_b64 s[4:5], exec
	v_mov_b32_e32 v52, v94
	v_div_scale_f64 v[20:21], s[20:21], v[16:17], v[16:17], v[18:19]
	v_rcp_f64_e32 v[22:23], v[20:21]
	v_fma_f64 v[24:25], -v[20:21], v[22:23], 1.0
	v_fma_f64 v[22:23], v[22:23], v[24:25], v[22:23]
	v_div_scale_f64 v[24:25], vcc, v[18:19], v[16:17], v[18:19]
	v_fma_f64 v[26:27], -v[20:21], v[22:23], 1.0
	v_fma_f64 v[22:23], v[22:23], v[26:27], v[22:23]
	v_mul_f64 v[26:27], v[24:25], v[22:23]
	v_fma_f64 v[20:21], -v[20:21], v[26:27], v[24:25]
	v_div_fmas_f64 v[24:25], v[20:21], v[22:23], v[26:27]
	ds_read2_b64 v[20:23], v67 offset1:1
	v_div_fixup_f64 v[18:19], v[24:25], v[16:17], v[18:19]
	s_waitcnt lgkmcnt(0)
	v_add_f64 v[16:17], v[22:23], -v[20:21]
	v_fma_f64 v[20:21], v[18:19], v[16:17], v[20:21]
	v_lshl_add_u32 v16, v53, 3, v67
	ds_write_b64 v16, v[51:52] offset:80
.LBB1_180:                              ;   in Loop: Header=BB1_131 Depth=1
	s_or_b64 exec, exec, s[18:19]
	s_and_b64 s[4:5], s[4:5], exec
                                        ; implicit-def: $vgpr16_vgpr17
.LBB1_181:                              ;   in Loop: Header=BB1_131 Depth=1
	s_or_saveexec_b64 s[16:17], s[16:17]
	v_mov_b32_e32 v24, 1
	v_mov_b32_e32 v23, -1
	v_mov_b32_e32 v25, v83
	v_mov_b32_e32 v22, v53
	s_xor_b64 exec, exec, s[16:17]
	s_cbranch_execz .LBB1_185
; %bb.182:                              ;   in Loop: Header=BB1_131 Depth=1
	ds_read_b64 v[18:19], v67 offset:8
	v_lshl_add_u32 v22, v53, 3, v67
	s_mov_b64 s[20:21], s[4:5]
                                        ; implicit-def: $vgpr20_vgpr21
	s_waitcnt lgkmcnt(0)
	ds_write2_b64 v22, v[18:19], v[16:17] offset1:10
	ds_read2_b64 v[16:19], v67 offset0:10 offset1:21
	s_waitcnt lgkmcnt(0)
	v_cmp_le_f64_e32 vcc, 1.0, v[16:17]
	ds_write_b64 v22, v[18:19] offset:160
                                        ; implicit-def: $vgpr18_vgpr19
	s_and_saveexec_b64 s[18:19], vcc
	s_cbranch_execz .LBB1_184
; %bb.183:                              ;   in Loop: Header=BB1_131 Depth=1
	ds_read_b64 v[18:19], v67 offset:88
	ds_read2_b64 v[23:26], v67 offset1:1
	v_mov_b32_e32 v52, v94
	ds_write_b64 v22, v[51:52] offset:72
	s_waitcnt lgkmcnt(2)
	v_add_f64 v[16:17], v[16:17], -v[18:19]
	v_add_f64 v[18:19], -v[18:19], 1.0
	v_div_scale_f64 v[20:21], s[20:21], v[16:17], v[16:17], v[18:19]
	s_or_b64 s[20:21], s[4:5], exec
	v_rcp_f64_e32 v[54:55], v[20:21]
	v_fma_f64 v[56:57], -v[20:21], v[54:55], 1.0
	v_fma_f64 v[54:55], v[54:55], v[56:57], v[54:55]
	v_div_scale_f64 v[56:57], vcc, v[18:19], v[16:17], v[18:19]
	v_fma_f64 v[58:59], -v[20:21], v[54:55], 1.0
	v_fma_f64 v[54:55], v[54:55], v[58:59], v[54:55]
	v_mul_f64 v[58:59], v[56:57], v[54:55]
	v_fma_f64 v[20:21], -v[20:21], v[58:59], v[56:57]
	v_div_fmas_f64 v[20:21], v[20:21], v[54:55], v[58:59]
	v_div_fixup_f64 v[18:19], v[20:21], v[16:17], v[18:19]
	s_waitcnt lgkmcnt(1)
	v_add_f64 v[16:17], v[23:24], -v[25:26]
	v_fma_f64 v[20:21], v[18:19], v[16:17], v[25:26]
.LBB1_184:                              ;   in Loop: Header=BB1_131 Depth=1
	s_or_b64 exec, exec, s[18:19]
	s_andn2_b64 s[4:5], s[4:5], exec
	s_and_b64 s[18:19], s[20:21], exec
	v_add_u32_e32 v22, -1, v53
	v_mov_b32_e32 v24, 0
	v_mov_b32_e32 v23, -2
	s_or_b64 s[4:5], s[4:5], s[18:19]
	v_mov_b32_e32 v25, v84
.LBB1_185:                              ;   in Loop: Header=BB1_131 Depth=1
	s_or_b64 exec, exec, s[16:17]
	s_and_saveexec_b64 s[16:17], s[4:5]
	s_cbranch_execz .LBB1_187
; %bb.186:                              ;   in Loop: Header=BB1_131 Depth=1
	v_lshl_add_u32 v22, v22, 3, v67
	ds_write_b64 v22, v[20:21]
	v_lshl_add_u32 v20, v24, 3, v67
	ds_read_b64 v[16:17], v25
	ds_read_b64 v[20:21], v20 offset:160
	s_waitcnt lgkmcnt(0)
	v_add_f64 v[20:21], v[20:21], -v[16:17]
	v_fma_f64 v[16:17], v[18:19], v[20:21], v[16:17]
	ds_write_b64 v22, v[16:17] offset:160
	v_add_u32_e32 v22, v23, v53
.LBB1_187:                              ;   in Loop: Header=BB1_131 Depth=1
	s_or_b64 exec, exec, s[16:17]
	v_add_u32_e32 v16, 1, v22
	v_cmp_ne_u32_e32 vcc, 10, v16
	v_mov_b32_e32 v26, 0
	s_and_saveexec_b64 s[4:5], vcc
	s_cbranch_execz .LBB1_201
; %bb.188:                              ;   in Loop: Header=BB1_131 Depth=1
	v_add_co_u32_e32 v18, vcc, -9, v22
	v_addc_co_u32_e64 v19, s[16:17], 0, -1, vcc
	v_mov_b32_e32 v17, v51
	v_lshl_add_u32 v27, v22, 3, v86
	v_mov_b32_e32 v26, 0
	v_mov_b32_e32 v20, 9
	s_mov_b64 s[16:17], 0
	v_mov_b32_e32 v21, 0
	s_branch .LBB1_190
.LBB1_189:                              ;   in Loop: Header=BB1_190 Depth=2
	s_or_b64 exec, exec, s[20:21]
	v_add_co_u32_e32 v22, vcc, 1, v16
	v_addc_co_u32_e32 v23, vcc, 0, v17, vcc
	v_add_co_u32_e32 v18, vcc, 1, v18
	v_addc_co_u32_e32 v19, vcc, 0, v19, vcc
	v_cmp_eq_u64_e32 vcc, 0, v[18:19]
	v_mov_b32_e32 v21, v17
	v_mov_b32_e32 v20, v16
	;; [unrolled: 1-line block ×3, first 2 shown]
	v_add_u32_e32 v27, 8, v27
	s_or_b64 s[16:17], vcc, s[16:17]
	v_mov_b32_e32 v17, v23
	s_andn2_b64 exec, exec, s[16:17]
	s_cbranch_execz .LBB1_200
.LBB1_190:                              ;   Parent Loop BB1_131 Depth=1
                                        ; =>  This Inner Loop Header: Depth=2
	v_lshl_add_u32 v53, v20, 3, v67
	ds_read_b64 v[22:23], v53 offset:80
	s_mov_b64 s[18:19], 0
                                        ; implicit-def: $vgpr20_vgpr21
	s_waitcnt lgkmcnt(0)
	v_cmp_le_f64_e32 vcc, 0, v[22:23]
	s_and_saveexec_b64 s[20:21], vcc
	s_xor_b64 s[20:21], exec, s[20:21]
	s_cbranch_execnz .LBB1_193
; %bb.191:                              ;   in Loop: Header=BB1_190 Depth=2
	s_andn2_saveexec_b64 s[20:21], s[20:21]
	s_cbranch_execnz .LBB1_196
.LBB1_192:                              ;   in Loop: Header=BB1_190 Depth=2
	s_or_b64 exec, exec, s[20:21]
	s_and_saveexec_b64 s[20:21], s[18:19]
	s_cbranch_execz .LBB1_189
	s_branch .LBB1_199
.LBB1_193:                              ;   in Loop: Header=BB1_190 Depth=2
	v_lshl_add_u32 v24, v26, 3, v67
	ds_write_b64 v24, v[22:23] offset:80
	ds_read_b64 v[20:21], v53
	s_waitcnt lgkmcnt(0)
	ds_write_b64 v24, v[20:21]
	ds_read_b64 v[20:21], v53 offset:160
	s_waitcnt lgkmcnt(0)
	ds_write_b64 v24, v[20:21] offset:160
	ds_read_b64 v[22:23], v27 offset:80
                                        ; implicit-def: $vgpr20_vgpr21
	s_waitcnt lgkmcnt(0)
	v_cmp_gt_f64_e32 vcc, 0, v[22:23]
	s_and_saveexec_b64 s[22:23], vcc
	s_cbranch_execz .LBB1_195
; %bb.194:                              ;   in Loop: Header=BB1_190 Depth=2
	ds_read_b64 v[20:21], v53 offset:80
	v_add_f64 v[54:55], -v[22:23], 0
	v_mov_b32_e32 v52, v51
	ds_write_b64 v24, v[51:52] offset:88
	s_mov_b64 s[18:19], exec
	s_waitcnt lgkmcnt(1)
	v_add_f64 v[20:21], v[20:21], -v[22:23]
	v_div_scale_f64 v[22:23], s[24:25], v[20:21], v[20:21], v[54:55]
	v_rcp_f64_e32 v[56:57], v[22:23]
	v_fma_f64 v[58:59], -v[22:23], v[56:57], 1.0
	v_fma_f64 v[56:57], v[56:57], v[58:59], v[56:57]
	v_div_scale_f64 v[58:59], vcc, v[54:55], v[20:21], v[54:55]
	v_fma_f64 v[60:61], -v[22:23], v[56:57], 1.0
	v_fma_f64 v[56:57], v[56:57], v[60:61], v[56:57]
	v_mul_f64 v[60:61], v[58:59], v[56:57]
	v_fma_f64 v[22:23], -v[22:23], v[60:61], v[58:59]
	v_div_fmas_f64 v[22:23], v[22:23], v[56:57], v[60:61]
	ds_read_b64 v[56:57], v27
	ds_read_b64 v[58:59], v53
	s_waitcnt lgkmcnt(0)
	v_add_f64 v[58:59], v[58:59], -v[56:57]
	v_div_fixup_f64 v[20:21], v[22:23], v[20:21], v[54:55]
	v_fma_f64 v[22:23], v[20:21], v[58:59], v[56:57]
	ds_write_b64 v24, v[22:23] offset:8
	ds_read_b64 v[22:23], v27 offset:160
	ds_read_b64 v[24:25], v53 offset:160
	s_waitcnt lgkmcnt(0)
	v_add_f64 v[24:25], v[24:25], -v[22:23]
	v_fma_f64 v[20:21], v[20:21], v[24:25], v[22:23]
.LBB1_195:                              ;   in Loop: Header=BB1_190 Depth=2
	s_or_b64 exec, exec, s[22:23]
	v_add_u32_e32 v26, 1, v26
	s_and_b64 s[18:19], s[18:19], exec
                                        ; implicit-def: $vgpr22_vgpr23
                                        ; implicit-def: $vgpr53
	s_andn2_saveexec_b64 s[20:21], s[20:21]
	s_cbranch_execz .LBB1_192
.LBB1_196:                              ;   in Loop: Header=BB1_190 Depth=2
	ds_read_b64 v[24:25], v27 offset:80
	s_mov_b64 s[24:25], s[18:19]
                                        ; implicit-def: $vgpr20_vgpr21
	s_waitcnt lgkmcnt(0)
	v_cmp_le_f64_e32 vcc, 0, v[24:25]
	s_and_saveexec_b64 s[22:23], vcc
	s_cbranch_execz .LBB1_198
; %bb.197:                              ;   in Loop: Header=BB1_190 Depth=2
	v_add_f64 v[20:21], v[24:25], -v[22:23]
	v_add_f64 v[22:23], -v[22:23], 0
	v_mov_b32_e32 v52, v51
	v_div_scale_f64 v[24:25], s[24:25], v[20:21], v[20:21], v[22:23]
	s_or_b64 s[24:25], s[18:19], exec
	v_rcp_f64_e32 v[54:55], v[24:25]
	v_fma_f64 v[56:57], -v[24:25], v[54:55], 1.0
	v_fma_f64 v[54:55], v[54:55], v[56:57], v[54:55]
	v_div_scale_f64 v[56:57], vcc, v[22:23], v[20:21], v[22:23]
	v_fma_f64 v[58:59], -v[24:25], v[54:55], 1.0
	v_fma_f64 v[54:55], v[54:55], v[58:59], v[54:55]
	v_mul_f64 v[58:59], v[56:57], v[54:55]
	v_fma_f64 v[24:25], -v[24:25], v[58:59], v[56:57]
	v_div_fmas_f64 v[24:25], v[24:25], v[54:55], v[58:59]
	v_lshl_add_u32 v58, v26, 3, v67
	ds_write_b64 v58, v[51:52] offset:80
	ds_read_b64 v[54:55], v53
	ds_read_b64 v[56:57], v27
	s_waitcnt lgkmcnt(0)
	v_add_f64 v[56:57], v[56:57], -v[54:55]
	v_div_fixup_f64 v[20:21], v[24:25], v[20:21], v[22:23]
	v_fma_f64 v[22:23], v[20:21], v[56:57], v[54:55]
	ds_write_b64 v58, v[22:23]
	ds_read_b64 v[22:23], v53 offset:160
	ds_read_b64 v[24:25], v27 offset:160
	s_waitcnt lgkmcnt(0)
	v_add_f64 v[24:25], v[24:25], -v[22:23]
	v_fma_f64 v[20:21], v[20:21], v[24:25], v[22:23]
.LBB1_198:                              ;   in Loop: Header=BB1_190 Depth=2
	s_or_b64 exec, exec, s[22:23]
	s_andn2_b64 s[18:19], s[18:19], exec
	s_and_b64 s[22:23], s[24:25], exec
	s_or_b64 s[18:19], s[18:19], s[22:23]
	s_or_b64 exec, exec, s[20:21]
	s_and_saveexec_b64 s[20:21], s[18:19]
	s_cbranch_execz .LBB1_189
.LBB1_199:                              ;   in Loop: Header=BB1_190 Depth=2
	v_lshl_add_u32 v22, v26, 3, v67
	v_add_u32_e32 v26, 1, v26
	ds_write_b64 v22, v[20:21] offset:160
	s_branch .LBB1_189
.LBB1_200:                              ;   in Loop: Header=BB1_131 Depth=1
	s_or_b64 exec, exec, s[16:17]
.LBB1_201:                              ;   in Loop: Header=BB1_131 Depth=1
	s_or_b64 exec, exec, s[4:5]
	v_mov_b32_e32 v16, 10
	v_mov_b32_e32 v17, 0
	v_cmp_ne_u32_e32 vcc, 0, v26
	s_and_saveexec_b64 s[4:5], vcc
	s_cbranch_execz .LBB1_215
; %bb.202:                              ;   in Loop: Header=BB1_131 Depth=1
	v_add_u32_e32 v16, -1, v26
	v_ashrrev_i32_e32 v17, 31, v16
	v_add_co_u32_e32 v18, vcc, 1, v16
	v_lshl_add_u32 v27, v26, 3, v87
	v_addc_co_u32_e32 v19, vcc, 0, v17, vcc
	v_mov_b32_e32 v53, 9
	v_mov_b32_e32 v20, 0
	s_mov_b64 s[16:17], 0
	v_mov_b32_e32 v21, 0
	s_branch .LBB1_204
.LBB1_203:                              ;   in Loop: Header=BB1_204 Depth=2
	s_or_b64 exec, exec, s[20:21]
	v_add_co_u32_e32 v22, vcc, -1, v16
	v_addc_co_u32_e32 v23, vcc, -1, v17, vcc
	v_add_co_u32_e32 v18, vcc, -1, v18
	v_addc_co_u32_e32 v19, vcc, -1, v19, vcc
	v_cmp_eq_u64_e32 vcc, 0, v[18:19]
	v_mov_b32_e32 v21, v17
	v_mov_b32_e32 v20, v16
	;; [unrolled: 1-line block ×3, first 2 shown]
	v_add_u32_e32 v27, -8, v27
	s_or_b64 s[16:17], vcc, s[16:17]
	v_mov_b32_e32 v53, v25
	v_mov_b32_e32 v17, v23
	s_andn2_b64 exec, exec, s[16:17]
	s_cbranch_execz .LBB1_214
.LBB1_204:                              ;   Parent Loop BB1_131 Depth=1
                                        ; =>  This Inner Loop Header: Depth=2
	v_lshl_add_u32 v54, v20, 3, v67
	ds_read_b64 v[23:24], v54
	v_add_u32_e32 v52, 0xffffff60, v27
	s_mov_b64 s[18:19], 0
                                        ; implicit-def: $vgpr21_vgpr22
	s_waitcnt lgkmcnt(0)
	v_cmp_ngt_f64_e32 vcc, 1.0, v[23:24]
	s_and_saveexec_b64 s[20:21], vcc
	s_xor_b64 s[20:21], exec, s[20:21]
	s_cbranch_execz .LBB1_208
; %bb.205:                              ;   in Loop: Header=BB1_204 Depth=2
	ds_read_b64 v[25:26], v52
                                        ; implicit-def: $vgpr21_vgpr22
	s_waitcnt lgkmcnt(0)
	v_cmp_gt_f64_e32 vcc, 1.0, v[25:26]
	s_and_saveexec_b64 s[22:23], vcc
	s_xor_b64 s[22:23], exec, s[22:23]
	s_cbranch_execz .LBB1_207
; %bb.206:                              ;   in Loop: Header=BB1_204 Depth=2
	v_add_f64 v[21:22], v[23:24], -v[25:26]
	v_add_f64 v[23:24], -v[25:26], 1.0
	v_mov_b32_e32 v52, v94
	s_mov_b64 s[18:19], exec
	v_div_scale_f64 v[25:26], s[24:25], v[21:22], v[21:22], v[23:24]
	v_rcp_f64_e32 v[55:56], v[25:26]
	v_fma_f64 v[57:58], -v[25:26], v[55:56], 1.0
	v_fma_f64 v[55:56], v[55:56], v[57:58], v[55:56]
	v_div_scale_f64 v[57:58], vcc, v[23:24], v[21:22], v[23:24]
	v_fma_f64 v[59:60], -v[25:26], v[55:56], 1.0
	v_fma_f64 v[55:56], v[55:56], v[59:60], v[55:56]
	v_mul_f64 v[59:60], v[57:58], v[55:56]
	v_fma_f64 v[25:26], -v[25:26], v[59:60], v[57:58]
	v_div_fmas_f64 v[25:26], v[25:26], v[55:56], v[59:60]
	v_lshl_add_u32 v59, v53, 3, v67
	v_add_u32_e32 v55, 0xffffffb0, v27
	ds_write_b64 v59, v[51:52]
	ds_read_b64 v[55:56], v55
	ds_read_b64 v[57:58], v54 offset:80
	v_div_fixup_f64 v[21:22], v[25:26], v[21:22], v[23:24]
	s_waitcnt lgkmcnt(0)
	v_add_f64 v[23:24], v[57:58], -v[55:56]
	v_fma_f64 v[23:24], v[21:22], v[23:24], v[55:56]
	ds_write_b64 v59, v[23:24] offset:80
.LBB1_207:                              ;   in Loop: Header=BB1_204 Depth=2
	s_or_b64 exec, exec, s[22:23]
	s_and_b64 s[18:19], s[18:19], exec
                                        ; implicit-def: $vgpr54
                                        ; implicit-def: $vgpr23_vgpr24
                                        ; implicit-def: $vgpr52
.LBB1_208:                              ;   in Loop: Header=BB1_204 Depth=2
	s_or_saveexec_b64 s[20:21], s[20:21]
	v_mov_b32_e32 v26, -1
	v_mov_b32_e32 v25, v53
	v_mov_b32_e32 v55, v27
	s_xor_b64 exec, exec, s[20:21]
	s_cbranch_execz .LBB1_212
; %bb.209:                              ;   in Loop: Header=BB1_204 Depth=2
	v_lshl_add_u32 v25, v53, 3, v67
	ds_write_b64 v25, v[23:24]
	ds_read_b64 v[20:21], v54 offset:80
	s_mov_b64 s[24:25], s[18:19]
	s_waitcnt lgkmcnt(0)
	ds_write_b64 v25, v[20:21] offset:80
	ds_read_b64 v[20:21], v54 offset:160
	s_waitcnt lgkmcnt(0)
	ds_write_b64 v25, v[20:21] offset:160
	ds_read_b64 v[23:24], v52
                                        ; implicit-def: $vgpr21_vgpr22
                                        ; implicit-def: $vgpr20
	s_waitcnt lgkmcnt(0)
	v_cmp_le_f64_e32 vcc, 1.0, v[23:24]
	s_and_saveexec_b64 s[22:23], vcc
	s_cbranch_execz .LBB1_211
; %bb.210:                              ;   in Loop: Header=BB1_204 Depth=2
	ds_read_b64 v[20:21], v54
	v_mov_b32_e32 v52, v94
	v_add_u32_e32 v26, 0xffffffb0, v27
	s_waitcnt lgkmcnt(0)
	v_add_f64 v[22:23], v[23:24], -v[20:21]
	v_add_f64 v[20:21], -v[20:21], 1.0
	v_add_u32_e32 v24, -8, v25
	ds_write_b64 v24, v[51:52]
	v_div_scale_f64 v[55:56], s[24:25], v[22:23], v[22:23], v[20:21]
	s_or_b64 s[24:25], s[18:19], exec
	v_rcp_f64_e32 v[57:58], v[55:56]
	v_fma_f64 v[59:60], -v[55:56], v[57:58], 1.0
	v_fma_f64 v[57:58], v[57:58], v[59:60], v[57:58]
	v_div_scale_f64 v[59:60], vcc, v[20:21], v[22:23], v[20:21]
	v_fma_f64 v[61:62], -v[55:56], v[57:58], 1.0
	v_fma_f64 v[57:58], v[57:58], v[61:62], v[57:58]
	v_mul_f64 v[61:62], v[59:60], v[57:58]
	v_fma_f64 v[55:56], -v[55:56], v[61:62], v[59:60]
	v_div_fmas_f64 v[55:56], v[55:56], v[57:58], v[61:62]
	ds_read_b64 v[57:58], v54 offset:80
	ds_read_b64 v[59:60], v26
	s_waitcnt lgkmcnt(0)
	v_add_f64 v[59:60], v[59:60], -v[57:58]
	v_div_fixup_f64 v[21:22], v[55:56], v[22:23], v[20:21]
	v_mov_b32_e32 v20, v16
	v_fma_f64 v[23:24], v[21:22], v[59:60], v[57:58]
	ds_write_b64 v25, v[23:24] offset:72
.LBB1_211:                              ;   in Loop: Header=BB1_204 Depth=2
	s_or_b64 exec, exec, s[22:23]
	s_andn2_b64 s[18:19], s[18:19], exec
	s_and_b64 s[22:23], s[24:25], exec
	v_add_u32_e32 v55, 0xa0, v54
	v_add_u32_e32 v25, -1, v53
	v_mov_b32_e32 v26, -2
	s_or_b64 s[18:19], s[18:19], s[22:23]
.LBB1_212:                              ;   in Loop: Header=BB1_204 Depth=2
	s_or_b64 exec, exec, s[20:21]
	s_and_saveexec_b64 s[20:21], s[18:19]
	s_cbranch_execz .LBB1_203
; %bb.213:                              ;   in Loop: Header=BB1_204 Depth=2
	v_lshl_add_u32 v20, v20, 3, v67
	ds_read_b64 v[23:24], v55
	ds_read_b64 v[54:55], v20 offset:160
	s_waitcnt lgkmcnt(0)
	v_add_f64 v[54:55], v[54:55], -v[23:24]
	v_fma_f64 v[20:21], v[21:22], v[54:55], v[23:24]
	v_lshl_add_u32 v22, v25, 3, v67
	v_add_u32_e32 v25, v26, v53
	ds_write_b64 v22, v[20:21] offset:160
	s_branch .LBB1_203
.LBB1_214:                              ;   in Loop: Header=BB1_131 Depth=1
	s_or_b64 exec, exec, s[16:17]
	v_add_u32_e32 v16, 1, v25
	v_ashrrev_i32_e32 v17, 31, v16
.LBB1_215:                              ;   in Loop: Header=BB1_131 Depth=1
	s_or_b64 exec, exec, s[4:5]
	v_cmp_ne_u64_e32 vcc, 10, v[16:17]
	v_mov_b32_e32 v53, 0
	s_and_saveexec_b64 s[4:5], vcc
	s_cbranch_execz .LBB1_229
; %bb.216:                              ;   in Loop: Header=BB1_131 Depth=1
	v_add_co_u32_e32 v18, vcc, -10, v16
	v_lshl_add_u32 v26, v16, 3, v67
	v_addc_co_u32_e32 v19, vcc, -1, v17, vcc
	v_mov_b32_e32 v53, 0
	v_mov_b32_e32 v20, 9
	s_mov_b64 s[16:17], 0
	v_mov_b32_e32 v21, 0
	s_branch .LBB1_218
.LBB1_217:                              ;   in Loop: Header=BB1_218 Depth=2
	s_or_b64 exec, exec, s[20:21]
	v_add_co_u32_e32 v22, vcc, 1, v16
	v_addc_co_u32_e32 v23, vcc, 0, v17, vcc
	v_add_co_u32_e32 v18, vcc, 1, v18
	v_addc_co_u32_e32 v19, vcc, 0, v19, vcc
	v_cmp_eq_u64_e32 vcc, 0, v[18:19]
	v_mov_b32_e32 v21, v17
	v_mov_b32_e32 v20, v16
	;; [unrolled: 1-line block ×3, first 2 shown]
	v_add_u32_e32 v26, 8, v26
	s_or_b64 s[16:17], vcc, s[16:17]
	v_mov_b32_e32 v17, v23
	s_andn2_b64 exec, exec, s[16:17]
	s_cbranch_execz .LBB1_228
.LBB1_218:                              ;   Parent Loop BB1_131 Depth=1
                                        ; =>  This Inner Loop Header: Depth=2
	v_lshl_add_u32 v27, v20, 3, v67
	ds_read_b64 v[22:23], v27
	s_mov_b64 s[18:19], 0
                                        ; implicit-def: $vgpr20_vgpr21
	s_waitcnt lgkmcnt(0)
	v_cmp_le_f64_e32 vcc, 0, v[22:23]
	s_and_saveexec_b64 s[20:21], vcc
	s_xor_b64 s[20:21], exec, s[20:21]
	s_cbranch_execnz .LBB1_221
; %bb.219:                              ;   in Loop: Header=BB1_218 Depth=2
	s_andn2_saveexec_b64 s[20:21], s[20:21]
	s_cbranch_execnz .LBB1_224
.LBB1_220:                              ;   in Loop: Header=BB1_218 Depth=2
	s_or_b64 exec, exec, s[20:21]
	s_and_saveexec_b64 s[20:21], s[18:19]
	s_cbranch_execz .LBB1_217
	s_branch .LBB1_227
.LBB1_221:                              ;   in Loop: Header=BB1_218 Depth=2
	v_lshl_add_u32 v24, v53, 3, v67
	ds_write_b64 v24, v[22:23]
	ds_read_b64 v[20:21], v27 offset:80
	s_waitcnt lgkmcnt(0)
	ds_write_b64 v24, v[20:21] offset:80
	ds_read_b64 v[20:21], v27 offset:160
	s_waitcnt lgkmcnt(0)
	ds_write_b64 v24, v[20:21] offset:160
	ds_read_b64 v[22:23], v26
                                        ; implicit-def: $vgpr20_vgpr21
	s_waitcnt lgkmcnt(0)
	v_cmp_gt_f64_e32 vcc, 0, v[22:23]
	s_and_saveexec_b64 s[22:23], vcc
	s_cbranch_execz .LBB1_223
; %bb.222:                              ;   in Loop: Header=BB1_218 Depth=2
	ds_read_b64 v[20:21], v27
	v_add_f64 v[54:55], -v[22:23], 0
	v_mov_b32_e32 v52, v51
	ds_write_b64 v24, v[51:52] offset:8
	s_mov_b64 s[18:19], exec
	s_waitcnt lgkmcnt(1)
	v_add_f64 v[20:21], v[20:21], -v[22:23]
	v_div_scale_f64 v[22:23], s[24:25], v[20:21], v[20:21], v[54:55]
	v_rcp_f64_e32 v[56:57], v[22:23]
	v_fma_f64 v[58:59], -v[22:23], v[56:57], 1.0
	v_fma_f64 v[56:57], v[56:57], v[58:59], v[56:57]
	v_div_scale_f64 v[58:59], vcc, v[54:55], v[20:21], v[54:55]
	v_fma_f64 v[60:61], -v[22:23], v[56:57], 1.0
	v_fma_f64 v[56:57], v[56:57], v[60:61], v[56:57]
	v_mul_f64 v[60:61], v[58:59], v[56:57]
	v_fma_f64 v[22:23], -v[22:23], v[60:61], v[58:59]
	v_div_fmas_f64 v[22:23], v[22:23], v[56:57], v[60:61]
	ds_read_b64 v[56:57], v26 offset:80
	ds_read_b64 v[58:59], v27 offset:80
	s_waitcnt lgkmcnt(0)
	v_add_f64 v[58:59], v[58:59], -v[56:57]
	v_div_fixup_f64 v[20:21], v[22:23], v[20:21], v[54:55]
	v_fma_f64 v[22:23], v[20:21], v[58:59], v[56:57]
	ds_write_b64 v24, v[22:23] offset:88
	ds_read_b64 v[22:23], v26 offset:160
	ds_read_b64 v[24:25], v27 offset:160
	s_waitcnt lgkmcnt(0)
	v_add_f64 v[24:25], v[24:25], -v[22:23]
	v_fma_f64 v[20:21], v[20:21], v[24:25], v[22:23]
.LBB1_223:                              ;   in Loop: Header=BB1_218 Depth=2
	s_or_b64 exec, exec, s[22:23]
	v_add_u32_e32 v53, 1, v53
	s_and_b64 s[18:19], s[18:19], exec
                                        ; implicit-def: $vgpr22_vgpr23
                                        ; implicit-def: $vgpr27
	s_andn2_saveexec_b64 s[20:21], s[20:21]
	s_cbranch_execz .LBB1_220
.LBB1_224:                              ;   in Loop: Header=BB1_218 Depth=2
	ds_read_b64 v[24:25], v26
	s_mov_b64 s[24:25], s[18:19]
                                        ; implicit-def: $vgpr20_vgpr21
	s_waitcnt lgkmcnt(0)
	v_cmp_le_f64_e32 vcc, 0, v[24:25]
	s_and_saveexec_b64 s[22:23], vcc
	s_cbranch_execz .LBB1_226
; %bb.225:                              ;   in Loop: Header=BB1_218 Depth=2
	v_add_f64 v[20:21], v[24:25], -v[22:23]
	v_add_f64 v[22:23], -v[22:23], 0
	v_mov_b32_e32 v52, v51
	v_div_scale_f64 v[24:25], s[24:25], v[20:21], v[20:21], v[22:23]
	s_or_b64 s[24:25], s[18:19], exec
	v_rcp_f64_e32 v[54:55], v[24:25]
	v_fma_f64 v[56:57], -v[24:25], v[54:55], 1.0
	v_fma_f64 v[54:55], v[54:55], v[56:57], v[54:55]
	v_div_scale_f64 v[56:57], vcc, v[22:23], v[20:21], v[22:23]
	v_fma_f64 v[58:59], -v[24:25], v[54:55], 1.0
	v_fma_f64 v[54:55], v[54:55], v[58:59], v[54:55]
	v_mul_f64 v[58:59], v[56:57], v[54:55]
	v_fma_f64 v[24:25], -v[24:25], v[58:59], v[56:57]
	v_div_fmas_f64 v[24:25], v[24:25], v[54:55], v[58:59]
	v_lshl_add_u32 v58, v53, 3, v67
	ds_write_b64 v58, v[51:52]
	ds_read_b64 v[54:55], v27 offset:80
	ds_read_b64 v[56:57], v26 offset:80
	s_waitcnt lgkmcnt(0)
	v_add_f64 v[56:57], v[56:57], -v[54:55]
	v_div_fixup_f64 v[20:21], v[24:25], v[20:21], v[22:23]
	v_fma_f64 v[22:23], v[20:21], v[56:57], v[54:55]
	ds_write_b64 v58, v[22:23] offset:80
	ds_read_b64 v[22:23], v27 offset:160
	ds_read_b64 v[24:25], v26 offset:160
	s_waitcnt lgkmcnt(0)
	v_add_f64 v[24:25], v[24:25], -v[22:23]
	v_fma_f64 v[20:21], v[20:21], v[24:25], v[22:23]
.LBB1_226:                              ;   in Loop: Header=BB1_218 Depth=2
	s_or_b64 exec, exec, s[22:23]
	s_andn2_b64 s[18:19], s[18:19], exec
	s_and_b64 s[22:23], s[24:25], exec
	s_or_b64 s[18:19], s[18:19], s[22:23]
	s_or_b64 exec, exec, s[20:21]
	s_and_saveexec_b64 s[20:21], s[18:19]
	s_cbranch_execz .LBB1_217
.LBB1_227:                              ;   in Loop: Header=BB1_218 Depth=2
	v_lshl_add_u32 v22, v53, 3, v67
	v_add_u32_e32 v53, 1, v53
	ds_write_b64 v22, v[20:21] offset:160
	s_branch .LBB1_217
.LBB1_228:                              ;   in Loop: Header=BB1_131 Depth=1
	s_or_b64 exec, exec, s[16:17]
.LBB1_229:                              ;   in Loop: Header=BB1_131 Depth=1
	s_or_b64 exec, exec, s[4:5]
	v_ashrrev_i32_e32 v54, 31, v53
	v_cmp_lt_i32_e64 s[4:5], 0, v53
	s_and_saveexec_b64 s[16:17], s[4:5]
	s_cbranch_execz .LBB1_232
; %bb.230:                              ;   in Loop: Header=BB1_131 Depth=1
	v_mov_b32_e32 v16, v53
	s_mov_b32 s20, 16
	s_mov_b64 s[18:19], 0
	v_mov_b32_e32 v18, v67
	v_mov_b32_e32 v17, v54
.LBB1_231:                              ;   Parent Loop BB1_131 Depth=1
                                        ; =>  This Inner Loop Header: Depth=2
	ds_read2_b64 v[19:22], v18 offset1:10
	v_add_co_u32_e32 v16, vcc, -1, v16
	v_addc_co_u32_e32 v17, vcc, -1, v17, vcc
	v_cmp_eq_u64_e32 vcc, 0, v[16:17]
	v_mov_b32_e32 v25, s20
	s_add_i32 s20, s20, 8
	ds_read_b64 v[23:24], v18 offset:160
	v_add_u32_e32 v18, 8, v18
	s_or_b64 s[18:19], vcc, s[18:19]
	s_waitcnt lgkmcnt(1)
	buffer_store_dword v20, v25, s[0:3], 0 offen offset:4
	buffer_store_dword v19, v25, s[0:3], 0 offen
	buffer_store_dword v22, v25, s[0:3], 0 offen offset:68
	buffer_store_dword v21, v25, s[0:3], 0 offen offset:64
	s_waitcnt lgkmcnt(0)
	buffer_store_dword v24, v25, s[0:3], 0 offen offset:132
	buffer_store_dword v23, v25, s[0:3], 0 offen offset:128
	s_andn2_b64 exec, exec, s[18:19]
	s_cbranch_execnz .LBB1_231
.LBB1_232:                              ;   in Loop: Header=BB1_131 Depth=1
	s_or_b64 exec, exec, s[16:17]
	v_subrev_co_u32_e32 v55, vcc, 1, v53
	s_xor_b64 s[16:17], vcc, -1
	v_ashrrev_i32_e32 v56, 31, v55
	v_mov_b32_e32 v26, 9
	v_lshl_add_u32 v52, v53, 3, v88
	s_and_saveexec_b64 s[18:19], s[16:17]
	s_cbranch_execnz .LBB1_235
; %bb.233:                              ;   in Loop: Header=BB1_131 Depth=1
	s_or_b64 exec, exec, s[18:19]
	v_cmp_gt_i32_e32 vcc, 7, v26
	s_and_saveexec_b64 s[18:19], vcc
	s_cbranch_execnz .LBB1_248
.LBB1_234:                              ;   in Loop: Header=BB1_131 Depth=1
	s_or_b64 exec, exec, s[18:19]
	s_and_saveexec_b64 s[18:19], s[4:5]
	s_cbranch_execnz .LBB1_253
	s_branch .LBB1_255
.LBB1_235:                              ;   in Loop: Header=BB1_131 Depth=1
	v_add_co_u32_e32 v16, vcc, 1, v55
	v_mov_b32_e32 v18, v55
	v_lshl_add_u32 v27, v53, 3, v88
	v_addc_co_u32_e32 v17, vcc, 0, v56, vcc
	v_mov_b32_e32 v26, 9
	s_mov_b64 s[20:21], 0
	v_mov_b32_e32 v20, 0
	v_mov_b32_e32 v19, v56
	;; [unrolled: 1-line block ×3, first 2 shown]
	s_branch .LBB1_237
.LBB1_236:                              ;   in Loop: Header=BB1_237 Depth=2
	s_or_b64 exec, exec, s[24:25]
	v_add_co_u32_e32 v22, vcc, -1, v18
	v_addc_co_u32_e32 v23, vcc, -1, v19, vcc
	v_add_co_u32_e32 v16, vcc, -1, v16
	v_addc_co_u32_e32 v17, vcc, -1, v17, vcc
	v_cmp_eq_u64_e32 vcc, 0, v[16:17]
	v_mov_b32_e32 v21, v19
	v_mov_b32_e32 v20, v18
	;; [unrolled: 1-line block ×3, first 2 shown]
	v_add_u32_e32 v27, -8, v27
	s_or_b64 s[20:21], vcc, s[20:21]
	v_mov_b32_e32 v19, v23
	s_andn2_b64 exec, exec, s[20:21]
	s_cbranch_execz .LBB1_247
.LBB1_237:                              ;   Parent Loop BB1_131 Depth=1
                                        ; =>  This Inner Loop Header: Depth=2
	v_lshl_add_u32 v57, v20, 3, v67
	ds_read_b64 v[22:23], v57 offset:160
	s_mov_b64 s[22:23], 0
                                        ; implicit-def: $vgpr20_vgpr21
	s_waitcnt lgkmcnt(0)
	v_cmp_ge_f64_e32 vcc, v[22:23], v[34:35]
	s_and_saveexec_b64 s[24:25], vcc
	s_xor_b64 s[24:25], exec, s[24:25]
	s_cbranch_execnz .LBB1_240
; %bb.238:                              ;   in Loop: Header=BB1_237 Depth=2
	s_andn2_saveexec_b64 s[24:25], s[24:25]
	s_cbranch_execnz .LBB1_243
.LBB1_239:                              ;   in Loop: Header=BB1_237 Depth=2
	s_or_b64 exec, exec, s[24:25]
	s_and_saveexec_b64 s[24:25], s[22:23]
	s_cbranch_execz .LBB1_236
	s_branch .LBB1_246
.LBB1_240:                              ;   in Loop: Header=BB1_237 Depth=2
	v_lshl_add_u32 v24, v26, 3, v67
	ds_write_b64 v24, v[22:23] offset:160
	ds_read_b64 v[20:21], v57
	s_waitcnt lgkmcnt(0)
	ds_write_b64 v24, v[20:21]
	ds_read_b64 v[20:21], v57 offset:80
	s_waitcnt lgkmcnt(0)
	ds_write_b64 v24, v[20:21] offset:80
	ds_read_b64 v[22:23], v27 offset:160
                                        ; implicit-def: $vgpr20_vgpr21
	s_waitcnt lgkmcnt(0)
	v_cmp_lt_f64_e32 vcc, v[22:23], v[34:35]
	s_and_saveexec_b64 s[26:27], vcc
	s_cbranch_execz .LBB1_242
; %bb.241:                              ;   in Loop: Header=BB1_237 Depth=2
	ds_read_b64 v[20:21], v57 offset:160
	v_add_f64 v[58:59], v[34:35], -v[22:23]
	ds_write_b64 v24, v[34:35] offset:152
	v_add_u32_e32 v24, -8, v24
	s_mov_b64 s[22:23], exec
	s_waitcnt lgkmcnt(1)
	v_add_f64 v[20:21], v[20:21], -v[22:23]
	v_div_scale_f64 v[22:23], s[28:29], v[20:21], v[20:21], v[58:59]
	v_rcp_f64_e32 v[60:61], v[22:23]
	v_fma_f64 v[62:63], -v[22:23], v[60:61], 1.0
	v_fma_f64 v[60:61], v[60:61], v[62:63], v[60:61]
	v_div_scale_f64 v[62:63], vcc, v[58:59], v[20:21], v[58:59]
	v_fma_f64 v[64:65], -v[22:23], v[60:61], 1.0
	v_fma_f64 v[60:61], v[60:61], v[64:65], v[60:61]
	v_mul_f64 v[64:65], v[62:63], v[60:61]
	v_fma_f64 v[22:23], -v[22:23], v[64:65], v[62:63]
	v_div_fmas_f64 v[22:23], v[22:23], v[60:61], v[64:65]
	ds_read_b64 v[60:61], v27
	ds_read_b64 v[62:63], v57
	s_waitcnt lgkmcnt(0)
	v_add_f64 v[62:63], v[62:63], -v[60:61]
	v_div_fixup_f64 v[20:21], v[22:23], v[20:21], v[58:59]
	v_fma_f64 v[22:23], v[20:21], v[62:63], v[60:61]
	ds_write_b64 v24, v[22:23]
	ds_read_b64 v[22:23], v27 offset:80
	ds_read_b64 v[24:25], v57 offset:80
	s_waitcnt lgkmcnt(0)
	v_add_f64 v[24:25], v[24:25], -v[22:23]
	v_fma_f64 v[20:21], v[20:21], v[24:25], v[22:23]
.LBB1_242:                              ;   in Loop: Header=BB1_237 Depth=2
	s_or_b64 exec, exec, s[26:27]
	v_add_u32_e32 v26, -1, v26
	s_and_b64 s[22:23], s[22:23], exec
                                        ; implicit-def: $vgpr22_vgpr23
                                        ; implicit-def: $vgpr57
	s_andn2_saveexec_b64 s[24:25], s[24:25]
	s_cbranch_execz .LBB1_239
.LBB1_243:                              ;   in Loop: Header=BB1_237 Depth=2
	ds_read_b64 v[24:25], v27 offset:160
	s_mov_b64 s[28:29], s[22:23]
                                        ; implicit-def: $vgpr20_vgpr21
	s_waitcnt lgkmcnt(0)
	v_cmp_ge_f64_e32 vcc, v[24:25], v[34:35]
	s_and_saveexec_b64 s[26:27], vcc
	s_cbranch_execz .LBB1_245
; %bb.244:                              ;   in Loop: Header=BB1_237 Depth=2
	v_add_f64 v[20:21], v[24:25], -v[22:23]
	v_add_f64 v[22:23], v[34:35], -v[22:23]
	v_div_scale_f64 v[24:25], s[28:29], v[20:21], v[20:21], v[22:23]
	s_or_b64 s[28:29], s[22:23], exec
	v_rcp_f64_e32 v[58:59], v[24:25]
	v_fma_f64 v[60:61], -v[24:25], v[58:59], 1.0
	v_fma_f64 v[58:59], v[58:59], v[60:61], v[58:59]
	v_div_scale_f64 v[60:61], vcc, v[22:23], v[20:21], v[22:23]
	v_fma_f64 v[62:63], -v[24:25], v[58:59], 1.0
	v_fma_f64 v[58:59], v[58:59], v[62:63], v[58:59]
	v_mul_f64 v[62:63], v[60:61], v[58:59]
	v_fma_f64 v[24:25], -v[24:25], v[62:63], v[60:61]
	v_div_fmas_f64 v[24:25], v[24:25], v[58:59], v[62:63]
	v_lshl_add_u32 v62, v26, 3, v67
	ds_write_b64 v62, v[34:35] offset:160
	ds_read_b64 v[58:59], v57
	ds_read_b64 v[60:61], v27
	s_waitcnt lgkmcnt(0)
	v_add_f64 v[60:61], v[60:61], -v[58:59]
	v_div_fixup_f64 v[20:21], v[24:25], v[20:21], v[22:23]
	v_fma_f64 v[22:23], v[20:21], v[60:61], v[58:59]
	ds_write_b64 v62, v[22:23]
	ds_read_b64 v[22:23], v57 offset:80
	ds_read_b64 v[24:25], v27 offset:80
	s_waitcnt lgkmcnt(0)
	v_add_f64 v[24:25], v[24:25], -v[22:23]
	v_fma_f64 v[20:21], v[20:21], v[24:25], v[22:23]
.LBB1_245:                              ;   in Loop: Header=BB1_237 Depth=2
	s_or_b64 exec, exec, s[26:27]
	s_andn2_b64 s[22:23], s[22:23], exec
	s_and_b64 s[26:27], s[28:29], exec
	s_or_b64 s[22:23], s[22:23], s[26:27]
	s_or_b64 exec, exec, s[24:25]
	s_and_saveexec_b64 s[24:25], s[22:23]
	s_cbranch_execz .LBB1_236
.LBB1_246:                              ;   in Loop: Header=BB1_237 Depth=2
	v_lshl_add_u32 v22, v26, 3, v67
	v_add_u32_e32 v26, -1, v26
	ds_write_b64 v22, v[20:21] offset:80
	s_branch .LBB1_236
.LBB1_247:                              ;   in Loop: Header=BB1_131 Depth=1
	s_or_b64 exec, exec, s[20:21]
	s_or_b64 exec, exec, s[18:19]
	v_cmp_gt_i32_e32 vcc, 7, v26
	s_and_saveexec_b64 s[18:19], vcc
	s_cbranch_execz .LBB1_234
.LBB1_248:                              ;   in Loop: Header=BB1_131 Depth=1
	v_sub_u32_e32 v57, 9, v26
	v_mov_b32_e32 v58, v51
	v_lshlrev_b32_e32 v59, 3, v26
	v_mov_b32_e32 v16, v57
	v_add_u32_e32 v18, v89, v59
	s_mov_b64 s[20:21], 0
	v_mov_b32_e32 v17, v58
.LBB1_249:                              ;   Parent Loop BB1_131 Depth=1
                                        ; =>  This Inner Loop Header: Depth=2
	v_add_co_u32_e32 v16, vcc, -1, v16
	v_addc_co_u32_e32 v17, vcc, -1, v17, vcc
	v_cmp_eq_u64_e32 vcc, 0, v[16:17]
	ds_write_b64 v18, v[34:35]
	s_or_b64 s[20:21], vcc, s[20:21]
	v_add_u32_e32 v18, 8, v18
	s_andn2_b64 exec, exec, s[20:21]
	s_cbranch_execnz .LBB1_249
; %bb.250:                              ;   in Loop: Header=BB1_131 Depth=1
	s_or_b64 exec, exec, s[20:21]
	v_lshl_add_u32 v24, v26, 3, v67
	ds_read2_b64 v[16:19], v24 offset0:1 offset1:2
	ds_read2_b64 v[20:23], v24 offset0:11 offset1:12
	;; [unrolled: 1-line block ×3, first 2 shown]
	v_add_co_u32_e32 v57, vcc, -2, v57
	v_addc_co_u32_e64 v58, s[20:21], 0, -1, vcc
	v_add_u32_e32 v95, v90, v59
	v_mov_b32_e32 v59, 0
	v_mov_b32_e32 v61, 0
	;; [unrolled: 1-line block ×8, first 2 shown]
	s_mov_b64 s[20:21], 0
.LBB1_251:                              ;   Parent Loop BB1_131 Depth=1
                                        ; =>  This Inner Loop Header: Depth=2
	ds_read2_b64 v[96:99], v95 offset1:10
	ds_read_b64 v[100:101], v95 offset:160
	s_waitcnt lgkmcnt(2)
	v_add_f64 v[102:103], v[24:25], v[26:27]
	v_add_f64 v[104:105], v[16:17], v[18:19]
	;; [unrolled: 1-line block ×3, first 2 shown]
	v_add_f64 v[108:109], v[16:17], -v[18:19]
	s_waitcnt lgkmcnt(1)
	v_add_f64 v[110:111], v[18:19], v[96:97]
	v_add_f64 v[22:23], v[22:23], v[98:99]
	v_add_f64 v[18:19], v[18:19], -v[96:97]
	s_waitcnt lgkmcnt(0)
	v_add_f64 v[26:27], v[26:27], v[100:101]
	v_mul_f64 v[120:121], v[102:103], 0.5
	v_add_f64 v[112:113], v[24:25], v[100:101]
	v_add_f64 v[116:117], v[20:21], v[98:99]
	v_add_f64 v[118:119], v[96:97], -v[16:17]
	v_fma_f64 v[102:103], v[102:103], 0.5, 0
	v_fma_f64 v[104:105], v[36:37], v[104:105], v[0:1]
	v_mul_f64 v[18:19], v[18:19], v[22:23]
	v_fma_f64 v[122:123], v[38:39], v[106:107], v[4:5]
	v_mul_f64 v[124:125], v[26:27], 0.5
	v_fma_f64 v[130:131], v[120:121], 0.5, v[6:7]
	v_add_f64 v[114:115], v[16:17], v[96:97]
	v_fma_f64 v[110:111], v[36:37], v[110:111], v[0:1]
	v_fma_f64 v[22:23], v[38:39], v[22:23], v[4:5]
	v_mul_f64 v[126:127], v[112:113], 0.5
	v_fma_f64 v[18:19], v[108:109], v[106:107], v[18:19]
	v_fma_f64 v[104:105], v[104:105], v[120:121], 0
	;; [unrolled: 1-line block ×3, first 2 shown]
	v_fma_f64 v[26:27], v[26:27], 0.5, v[102:103]
	v_fma_f64 v[102:103], v[124:125], 0.5, v[6:7]
	v_fma_f64 v[108:109], v[120:121], v[130:131], 0
	v_fma_f64 v[114:115], v[36:37], v[114:115], v[0:1]
	;; [unrolled: 1-line block ×4, first 2 shown]
	v_fma_f64 v[116:117], v[126:127], 0.5, v[6:7]
	v_fma_f64 v[104:105], v[110:111], v[124:125], v[104:105]
	v_fma_f64 v[22:23], v[124:125], v[22:23], v[106:107]
	v_fma_f64 v[26:27], v[112:113], 0.5, v[26:27]
	v_fma_f64 v[102:103], v[124:125], v[102:103], v[108:109]
	v_add_co_u32_e32 v57, vcc, -1, v57
	v_mul_f64 v[18:19], v[18:19], 0.5
	v_addc_co_u32_e32 v58, vcc, -1, v58, vcc
	v_fma_f64 v[104:105], v[114:115], v[126:127], v[104:105]
	v_fma_f64 v[22:23], v[126:127], v[128:129], v[22:23]
	;; [unrolled: 1-line block ×3, first 2 shown]
	v_cmp_eq_u64_e32 vcc, 0, v[57:58]
	v_add_u32_e32 v95, 8, v95
	v_mul_f64 v[18:19], v[18:19], s[12:13]
	s_or_b64 s[20:21], vcc, s[20:21]
	v_fma_f64 v[59:60], v[26:27], v[18:19], v[59:60]
	v_fma_f64 v[61:62], v[18:19], v[104:105], v[61:62]
	;; [unrolled: 1-line block ×4, first 2 shown]
	v_mov_b32_e32 v18, v96
	v_mov_b32_e32 v22, v98
	;; [unrolled: 1-line block ×6, first 2 shown]
	s_andn2_b64 exec, exec, s[20:21]
	s_cbranch_execnz .LBB1_251
; %bb.252:                              ;   in Loop: Header=BB1_131 Depth=1
	s_or_b64 exec, exec, s[20:21]
	v_fma_f64 v[8:9], v[2:3], v[59:60], v[8:9]
	v_fma_f64 v[10:11], v[2:3], v[61:62], v[10:11]
	v_fma_f64 v[12:13], v[2:3], v[63:64], v[12:13]
	v_fma_f64 v[14:15], v[2:3], v[65:66], v[14:15]
	s_or_b64 exec, exec, s[18:19]
	s_and_saveexec_b64 s[18:19], s[4:5]
	s_cbranch_execz .LBB1_255
.LBB1_253:                              ;   in Loop: Header=BB1_131 Depth=1
	s_mov_b32 s20, 16
	s_mov_b64 s[4:5], 0
	v_mov_b32_e32 v16, v67
.LBB1_254:                              ;   Parent Loop BB1_131 Depth=1
                                        ; =>  This Inner Loop Header: Depth=2
	v_mov_b32_e32 v23, s20
	buffer_load_dword v17, v23, s[0:3], 0 offen
	buffer_load_dword v18, v23, s[0:3], 0 offen offset:4
	buffer_load_dword v20, v23, s[0:3], 0 offen offset:68
	;; [unrolled: 1-line block ×5, first 2 shown]
	v_add_co_u32_e32 v53, vcc, -1, v53
	v_addc_co_u32_e32 v54, vcc, -1, v54, vcc
	v_cmp_eq_u64_e32 vcc, 0, v[53:54]
	s_add_i32 s20, s20, 8
	s_or_b64 s[4:5], vcc, s[4:5]
	s_waitcnt vmcnt(1)
	ds_write2_b64 v16, v[17:18], v[19:20] offset1:10
	s_waitcnt vmcnt(0)
	ds_write_b64 v16, v[21:22] offset:160
	v_add_u32_e32 v16, 8, v16
	s_andn2_b64 exec, exec, s[4:5]
	s_cbranch_execnz .LBB1_254
.LBB1_255:                              ;   in Loop: Header=BB1_131 Depth=1
	s_or_b64 exec, exec, s[18:19]
	v_mov_b32_e32 v16, 10
	v_mov_b32_e32 v17, 0
	s_and_saveexec_b64 s[4:5], s[16:17]
	s_cbranch_execz .LBB1_269
; %bb.256:                              ;   in Loop: Header=BB1_131 Depth=1
	v_add_co_u32_e32 v16, vcc, 1, v55
	v_addc_co_u32_e32 v17, vcc, 0, v56, vcc
	v_mov_b32_e32 v25, 9
	v_mov_b32_e32 v18, 0
	s_mov_b64 s[16:17], 0
	v_mov_b32_e32 v19, 0
	s_branch .LBB1_258
.LBB1_257:                              ;   in Loop: Header=BB1_258 Depth=2
	s_or_b64 exec, exec, s[20:21]
	v_add_co_u32_e32 v20, vcc, -1, v55
	v_addc_co_u32_e32 v21, vcc, -1, v56, vcc
	v_add_co_u32_e32 v16, vcc, -1, v16
	v_addc_co_u32_e32 v17, vcc, -1, v17, vcc
	v_cmp_eq_u64_e32 vcc, 0, v[16:17]
	v_mov_b32_e32 v18, v55
	v_mov_b32_e32 v19, v56
	;; [unrolled: 1-line block ×3, first 2 shown]
	v_add_u32_e32 v52, -8, v52
	s_or_b64 s[16:17], vcc, s[16:17]
	v_mov_b32_e32 v25, v23
	v_mov_b32_e32 v55, v20
	s_andn2_b64 exec, exec, s[16:17]
	s_cbranch_execz .LBB1_268
.LBB1_258:                              ;   Parent Loop BB1_131 Depth=1
                                        ; =>  This Inner Loop Header: Depth=2
	v_lshl_add_u32 v26, v18, 3, v67
	ds_read_b64 v[21:22], v26 offset:160
	s_mov_b64 s[18:19], 0
                                        ; implicit-def: $vgpr19_vgpr20
                                        ; implicit-def: $vgpr27
	s_waitcnt lgkmcnt(0)
	v_cmp_nlt_f64_e32 vcc, v[21:22], v[34:35]
	s_and_saveexec_b64 s[20:21], vcc
	s_xor_b64 s[20:21], exec, s[20:21]
	s_cbranch_execz .LBB1_262
; %bb.259:                              ;   in Loop: Header=BB1_258 Depth=2
	ds_read_b64 v[23:24], v52 offset:160
                                        ; implicit-def: $vgpr19_vgpr20
                                        ; implicit-def: $vgpr27
	s_waitcnt lgkmcnt(0)
	v_cmp_lt_f64_e32 vcc, v[23:24], v[34:35]
	s_and_saveexec_b64 s[22:23], vcc
	s_xor_b64 s[22:23], exec, s[22:23]
	s_cbranch_execz .LBB1_261
; %bb.260:                              ;   in Loop: Header=BB1_258 Depth=2
	v_add_f64 v[19:20], v[21:22], -v[23:24]
	v_add_f64 v[21:22], v[34:35], -v[23:24]
	s_mov_b64 s[18:19], exec
	v_div_scale_f64 v[23:24], s[24:25], v[19:20], v[19:20], v[21:22]
	v_rcp_f64_e32 v[53:54], v[23:24]
	v_fma_f64 v[57:58], -v[23:24], v[53:54], 1.0
	v_fma_f64 v[53:54], v[53:54], v[57:58], v[53:54]
	v_div_scale_f64 v[57:58], vcc, v[21:22], v[19:20], v[21:22]
	v_fma_f64 v[59:60], -v[23:24], v[53:54], 1.0
	v_fma_f64 v[53:54], v[53:54], v[59:60], v[53:54]
	v_mul_f64 v[59:60], v[57:58], v[53:54]
	v_fma_f64 v[23:24], -v[23:24], v[59:60], v[57:58]
	v_lshl_add_u32 v57, v25, 3, v67
	ds_write_b64 v57, v[34:35] offset:160
	v_div_fmas_f64 v[23:24], v[23:24], v[53:54], v[59:60]
	ds_read_b64 v[53:54], v52
	ds_read_b64 v[26:27], v26
	s_waitcnt lgkmcnt(0)
	v_add_f64 v[26:27], v[26:27], -v[53:54]
	v_div_fixup_f64 v[19:20], v[23:24], v[19:20], v[21:22]
	v_fma_f64 v[21:22], v[19:20], v[26:27], v[53:54]
	v_add_u32_e32 v27, 0x50, v52
	ds_write_b64 v57, v[21:22]
.LBB1_261:                              ;   in Loop: Header=BB1_258 Depth=2
	s_or_b64 exec, exec, s[22:23]
	s_and_b64 s[18:19], s[18:19], exec
                                        ; implicit-def: $vgpr26
                                        ; implicit-def: $vgpr21_vgpr22
.LBB1_262:                              ;   in Loop: Header=BB1_258 Depth=2
	s_or_saveexec_b64 s[20:21], s[20:21]
	v_mov_b32_e32 v24, -1
	v_mov_b32_e32 v23, v25
	s_xor_b64 exec, exec, s[20:21]
	s_cbranch_execz .LBB1_266
; %bb.263:                              ;   in Loop: Header=BB1_258 Depth=2
	v_lshl_add_u32 v23, v25, 3, v67
	ds_write_b64 v23, v[21:22] offset:160
	ds_read_b64 v[18:19], v26
	s_mov_b64 s[24:25], s[18:19]
	s_waitcnt lgkmcnt(0)
	ds_write_b64 v23, v[18:19]
	ds_read_b64 v[18:19], v26 offset:80
	s_waitcnt lgkmcnt(0)
	ds_write_b64 v23, v[18:19] offset:80
	ds_read_b64 v[21:22], v52 offset:160
                                        ; implicit-def: $vgpr19_vgpr20
                                        ; implicit-def: $vgpr18
	s_waitcnt lgkmcnt(0)
	v_cmp_ge_f64_e32 vcc, v[21:22], v[34:35]
	s_and_saveexec_b64 s[22:23], vcc
	s_cbranch_execz .LBB1_265
; %bb.264:                              ;   in Loop: Header=BB1_258 Depth=2
	ds_read_b64 v[18:19], v26 offset:160
	ds_write_b64 v23, v[34:35] offset:152
	s_waitcnt lgkmcnt(1)
	v_add_f64 v[20:21], v[21:22], -v[18:19]
	v_add_f64 v[18:19], v[34:35], -v[18:19]
	v_div_scale_f64 v[53:54], s[24:25], v[20:21], v[20:21], v[18:19]
	s_or_b64 s[24:25], s[18:19], exec
	v_rcp_f64_e32 v[57:58], v[53:54]
	v_fma_f64 v[59:60], -v[53:54], v[57:58], 1.0
	v_fma_f64 v[57:58], v[57:58], v[59:60], v[57:58]
	v_div_scale_f64 v[59:60], vcc, v[18:19], v[20:21], v[18:19]
	v_fma_f64 v[61:62], -v[53:54], v[57:58], 1.0
	v_fma_f64 v[57:58], v[57:58], v[61:62], v[57:58]
	v_mul_f64 v[61:62], v[59:60], v[57:58]
	v_fma_f64 v[53:54], -v[53:54], v[61:62], v[59:60]
	v_div_fmas_f64 v[53:54], v[53:54], v[57:58], v[61:62]
	ds_read_b64 v[57:58], v26
	ds_read_b64 v[59:60], v52
	s_waitcnt lgkmcnt(0)
	v_add_f64 v[59:60], v[59:60], -v[57:58]
	v_div_fixup_f64 v[19:20], v[53:54], v[20:21], v[18:19]
	v_add_u32_e32 v18, -8, v23
	v_fma_f64 v[21:22], v[19:20], v[59:60], v[57:58]
	ds_write_b64 v18, v[21:22]
	v_mov_b32_e32 v18, v55
.LBB1_265:                              ;   in Loop: Header=BB1_258 Depth=2
	s_or_b64 exec, exec, s[22:23]
	s_andn2_b64 s[18:19], s[18:19], exec
	s_and_b64 s[22:23], s[24:25], exec
	v_add_u32_e32 v27, 0x50, v26
	v_add_u32_e32 v23, -1, v25
	v_mov_b32_e32 v24, -2
	s_or_b64 s[18:19], s[18:19], s[22:23]
.LBB1_266:                              ;   in Loop: Header=BB1_258 Depth=2
	s_or_b64 exec, exec, s[20:21]
	s_and_saveexec_b64 s[20:21], s[18:19]
	s_cbranch_execz .LBB1_257
; %bb.267:                              ;   in Loop: Header=BB1_258 Depth=2
	v_lshl_add_u32 v18, v18, 3, v67
	ds_read_b64 v[21:22], v27
	ds_read_b64 v[26:27], v18 offset:80
	s_waitcnt lgkmcnt(0)
	v_add_f64 v[26:27], v[26:27], -v[21:22]
	v_fma_f64 v[18:19], v[19:20], v[26:27], v[21:22]
	v_lshl_add_u32 v20, v23, 3, v67
	v_add_u32_e32 v23, v24, v25
	ds_write_b64 v20, v[18:19] offset:80
	s_branch .LBB1_257
.LBB1_268:                              ;   in Loop: Header=BB1_131 Depth=1
	s_or_b64 exec, exec, s[16:17]
	v_add_u32_e32 v16, 1, v23
	v_ashrrev_i32_e32 v17, 31, v16
.LBB1_269:                              ;   in Loop: Header=BB1_131 Depth=1
	s_or_b64 exec, exec, s[4:5]
	v_cmp_ne_u64_e32 vcc, 10, v[16:17]
	v_mov_b32_e32 v53, 0
	s_and_saveexec_b64 s[4:5], vcc
	s_cbranch_execz .LBB1_283
; %bb.270:                              ;   in Loop: Header=BB1_131 Depth=1
	v_add_co_u32_e32 v18, vcc, -10, v16
	v_lshl_add_u32 v26, v16, 3, v67
	v_addc_co_u32_e32 v19, vcc, -1, v17, vcc
	v_mov_b32_e32 v53, 0
	v_mov_b32_e32 v20, 9
	s_mov_b64 s[16:17], 0
	v_mov_b32_e32 v21, 0
	s_branch .LBB1_272
.LBB1_271:                              ;   in Loop: Header=BB1_272 Depth=2
	s_or_b64 exec, exec, s[20:21]
	v_add_co_u32_e32 v22, vcc, 1, v16
	v_addc_co_u32_e32 v23, vcc, 0, v17, vcc
	v_add_co_u32_e32 v18, vcc, 1, v18
	v_addc_co_u32_e32 v19, vcc, 0, v19, vcc
	v_cmp_eq_u64_e32 vcc, 0, v[18:19]
	v_mov_b32_e32 v21, v17
	v_mov_b32_e32 v20, v16
	v_mov_b32_e32 v16, v22
	v_add_u32_e32 v26, 8, v26
	s_or_b64 s[16:17], vcc, s[16:17]
	v_mov_b32_e32 v17, v23
	s_andn2_b64 exec, exec, s[16:17]
	s_cbranch_execz .LBB1_282
.LBB1_272:                              ;   Parent Loop BB1_131 Depth=1
                                        ; =>  This Inner Loop Header: Depth=2
	v_lshl_add_u32 v27, v20, 3, v67
	ds_read_b64 v[22:23], v27 offset:160
	s_mov_b64 s[18:19], 0
                                        ; implicit-def: $vgpr20_vgpr21
	s_waitcnt lgkmcnt(0)
	v_cmp_le_f64_e32 vcc, 0, v[22:23]
	s_and_saveexec_b64 s[20:21], vcc
	s_xor_b64 s[20:21], exec, s[20:21]
	s_cbranch_execnz .LBB1_275
; %bb.273:                              ;   in Loop: Header=BB1_272 Depth=2
	s_andn2_saveexec_b64 s[20:21], s[20:21]
	s_cbranch_execnz .LBB1_278
.LBB1_274:                              ;   in Loop: Header=BB1_272 Depth=2
	s_or_b64 exec, exec, s[20:21]
	s_and_saveexec_b64 s[20:21], s[18:19]
	s_cbranch_execz .LBB1_271
	s_branch .LBB1_281
.LBB1_275:                              ;   in Loop: Header=BB1_272 Depth=2
	v_lshl_add_u32 v24, v53, 3, v67
	ds_write_b64 v24, v[22:23] offset:160
	ds_read_b64 v[20:21], v27
	s_waitcnt lgkmcnt(0)
	ds_write_b64 v24, v[20:21]
	ds_read_b64 v[20:21], v27 offset:80
	s_waitcnt lgkmcnt(0)
	ds_write_b64 v24, v[20:21] offset:80
	ds_read_b64 v[22:23], v26 offset:160
                                        ; implicit-def: $vgpr20_vgpr21
	s_waitcnt lgkmcnt(0)
	v_cmp_gt_f64_e32 vcc, 0, v[22:23]
	s_and_saveexec_b64 s[22:23], vcc
	s_cbranch_execz .LBB1_277
; %bb.276:                              ;   in Loop: Header=BB1_272 Depth=2
	ds_read_b64 v[20:21], v27 offset:160
	v_add_f64 v[54:55], -v[22:23], 0
	v_mov_b32_e32 v52, v51
	ds_write_b64 v24, v[51:52] offset:168
	s_mov_b64 s[18:19], exec
	s_waitcnt lgkmcnt(1)
	v_add_f64 v[20:21], v[20:21], -v[22:23]
	v_div_scale_f64 v[22:23], s[24:25], v[20:21], v[20:21], v[54:55]
	v_rcp_f64_e32 v[56:57], v[22:23]
	v_fma_f64 v[58:59], -v[22:23], v[56:57], 1.0
	v_fma_f64 v[56:57], v[56:57], v[58:59], v[56:57]
	v_div_scale_f64 v[58:59], vcc, v[54:55], v[20:21], v[54:55]
	v_fma_f64 v[60:61], -v[22:23], v[56:57], 1.0
	v_fma_f64 v[56:57], v[56:57], v[60:61], v[56:57]
	v_mul_f64 v[60:61], v[58:59], v[56:57]
	v_fma_f64 v[22:23], -v[22:23], v[60:61], v[58:59]
	v_div_fmas_f64 v[22:23], v[22:23], v[56:57], v[60:61]
	ds_read_b64 v[56:57], v26
	ds_read_b64 v[58:59], v27
	s_waitcnt lgkmcnt(0)
	v_add_f64 v[58:59], v[58:59], -v[56:57]
	v_div_fixup_f64 v[20:21], v[22:23], v[20:21], v[54:55]
	v_fma_f64 v[22:23], v[20:21], v[58:59], v[56:57]
	ds_write_b64 v24, v[22:23] offset:8
	ds_read_b64 v[22:23], v26 offset:80
	ds_read_b64 v[24:25], v27 offset:80
	s_waitcnt lgkmcnt(0)
	v_add_f64 v[24:25], v[24:25], -v[22:23]
	v_fma_f64 v[20:21], v[20:21], v[24:25], v[22:23]
.LBB1_277:                              ;   in Loop: Header=BB1_272 Depth=2
	s_or_b64 exec, exec, s[22:23]
	v_add_u32_e32 v53, 1, v53
	s_and_b64 s[18:19], s[18:19], exec
                                        ; implicit-def: $vgpr22_vgpr23
                                        ; implicit-def: $vgpr27
	s_andn2_saveexec_b64 s[20:21], s[20:21]
	s_cbranch_execz .LBB1_274
.LBB1_278:                              ;   in Loop: Header=BB1_272 Depth=2
	ds_read_b64 v[24:25], v26 offset:160
	s_mov_b64 s[24:25], s[18:19]
                                        ; implicit-def: $vgpr20_vgpr21
	s_waitcnt lgkmcnt(0)
	v_cmp_le_f64_e32 vcc, 0, v[24:25]
	s_and_saveexec_b64 s[22:23], vcc
	s_cbranch_execz .LBB1_280
; %bb.279:                              ;   in Loop: Header=BB1_272 Depth=2
	v_add_f64 v[20:21], v[24:25], -v[22:23]
	v_add_f64 v[22:23], -v[22:23], 0
	v_mov_b32_e32 v52, v51
	v_div_scale_f64 v[24:25], s[24:25], v[20:21], v[20:21], v[22:23]
	s_or_b64 s[24:25], s[18:19], exec
	v_rcp_f64_e32 v[54:55], v[24:25]
	v_fma_f64 v[56:57], -v[24:25], v[54:55], 1.0
	v_fma_f64 v[54:55], v[54:55], v[56:57], v[54:55]
	v_div_scale_f64 v[56:57], vcc, v[22:23], v[20:21], v[22:23]
	v_fma_f64 v[58:59], -v[24:25], v[54:55], 1.0
	v_fma_f64 v[54:55], v[54:55], v[58:59], v[54:55]
	v_mul_f64 v[58:59], v[56:57], v[54:55]
	v_fma_f64 v[24:25], -v[24:25], v[58:59], v[56:57]
	v_div_fmas_f64 v[24:25], v[24:25], v[54:55], v[58:59]
	v_lshl_add_u32 v58, v53, 3, v67
	ds_write_b64 v58, v[51:52] offset:160
	ds_read_b64 v[54:55], v27
	ds_read_b64 v[56:57], v26
	s_waitcnt lgkmcnt(0)
	v_add_f64 v[56:57], v[56:57], -v[54:55]
	v_div_fixup_f64 v[20:21], v[24:25], v[20:21], v[22:23]
	v_fma_f64 v[22:23], v[20:21], v[56:57], v[54:55]
	ds_write_b64 v58, v[22:23]
	ds_read_b64 v[22:23], v27 offset:80
	ds_read_b64 v[24:25], v26 offset:80
	s_waitcnt lgkmcnt(0)
	v_add_f64 v[24:25], v[24:25], -v[22:23]
	v_fma_f64 v[20:21], v[20:21], v[24:25], v[22:23]
.LBB1_280:                              ;   in Loop: Header=BB1_272 Depth=2
	s_or_b64 exec, exec, s[22:23]
	s_andn2_b64 s[18:19], s[18:19], exec
	s_and_b64 s[22:23], s[24:25], exec
	s_or_b64 s[18:19], s[18:19], s[22:23]
	s_or_b64 exec, exec, s[20:21]
	s_and_saveexec_b64 s[20:21], s[18:19]
	s_cbranch_execz .LBB1_271
.LBB1_281:                              ;   in Loop: Header=BB1_272 Depth=2
	v_lshl_add_u32 v22, v53, 3, v67
	v_add_u32_e32 v53, 1, v53
	ds_write_b64 v22, v[20:21] offset:80
	s_branch .LBB1_271
.LBB1_282:                              ;   in Loop: Header=BB1_131 Depth=1
	s_or_b64 exec, exec, s[16:17]
.LBB1_283:                              ;   in Loop: Header=BB1_131 Depth=1
	s_or_b64 exec, exec, s[4:5]
	v_cmp_lt_i32_e32 vcc, 2, v53
	s_and_saveexec_b64 s[4:5], vcc
	s_cbranch_execz .LBB1_130
; %bb.284:                              ;   in Loop: Header=BB1_131 Depth=1
	ds_read2_b64 v[16:19], v67 offset1:1
	ds_read2_b64 v[20:23], v67 offset0:10 offset1:11
	ds_read2_b64 v[24:27], v67 offset0:20 offset1:21
	v_add_co_u32_e32 v52, vcc, -2, v53
	v_addc_co_u32_e64 v53, s[16:17], 0, -1, vcc
	v_mov_b32_e32 v54, 0
	v_mov_b32_e32 v56, 0
	v_mov_b32_e32 v58, 0
	v_mov_b32_e32 v60, 0
	v_mov_b32_e32 v55, 0
	s_mov_b64 s[16:17], 0
	v_mov_b32_e32 v57, 0
	v_mov_b32_e32 v59, 0
	;; [unrolled: 1-line block ×4, first 2 shown]
.LBB1_285:                              ;   Parent Loop BB1_131 Depth=1
                                        ; =>  This Inner Loop Header: Depth=2
	ds_read2_b64 v[63:66], v62 offset1:10
	ds_read_b64 v[95:96], v62 offset:160
	s_waitcnt lgkmcnt(2)
	v_add_f64 v[97:98], v[24:25], v[26:27]
	v_add_f64 v[99:100], v[16:17], v[18:19]
	;; [unrolled: 1-line block ×3, first 2 shown]
	v_add_f64 v[103:104], v[16:17], -v[18:19]
	s_waitcnt lgkmcnt(1)
	v_add_f64 v[105:106], v[18:19], v[63:64]
	v_add_f64 v[22:23], v[22:23], v[65:66]
	v_add_f64 v[18:19], v[18:19], -v[63:64]
	s_waitcnt lgkmcnt(0)
	v_add_f64 v[26:27], v[26:27], v[95:96]
	v_mul_f64 v[115:116], v[97:98], 0.5
	v_add_f64 v[107:108], v[24:25], v[95:96]
	v_add_f64 v[111:112], v[20:21], v[65:66]
	v_add_f64 v[113:114], v[63:64], -v[16:17]
	v_fma_f64 v[97:98], v[97:98], 0.5, 0
	v_fma_f64 v[99:100], v[36:37], v[99:100], v[0:1]
	v_mul_f64 v[18:19], v[18:19], v[22:23]
	v_fma_f64 v[117:118], v[38:39], v[101:102], v[4:5]
	v_mul_f64 v[119:120], v[26:27], 0.5
	v_fma_f64 v[125:126], v[115:116], 0.5, v[6:7]
	v_add_f64 v[109:110], v[16:17], v[63:64]
	v_fma_f64 v[105:106], v[36:37], v[105:106], v[0:1]
	v_fma_f64 v[22:23], v[38:39], v[22:23], v[4:5]
	v_mul_f64 v[121:122], v[107:108], 0.5
	v_fma_f64 v[18:19], v[103:104], v[101:102], v[18:19]
	v_fma_f64 v[99:100], v[99:100], v[115:116], 0
	;; [unrolled: 1-line block ×3, first 2 shown]
	v_fma_f64 v[26:27], v[26:27], 0.5, v[97:98]
	v_fma_f64 v[97:98], v[119:120], 0.5, v[6:7]
	v_fma_f64 v[103:104], v[115:116], v[125:126], 0
	v_fma_f64 v[109:110], v[36:37], v[109:110], v[0:1]
	;; [unrolled: 1-line block ×4, first 2 shown]
	v_fma_f64 v[111:112], v[121:122], 0.5, v[6:7]
	v_fma_f64 v[99:100], v[105:106], v[119:120], v[99:100]
	v_fma_f64 v[22:23], v[119:120], v[22:23], v[101:102]
	v_fma_f64 v[26:27], v[107:108], 0.5, v[26:27]
	v_fma_f64 v[97:98], v[119:120], v[97:98], v[103:104]
	v_add_co_u32_e32 v52, vcc, -1, v52
	v_mul_f64 v[18:19], v[18:19], 0.5
	v_addc_co_u32_e32 v53, vcc, -1, v53, vcc
	v_fma_f64 v[99:100], v[109:110], v[121:122], v[99:100]
	v_fma_f64 v[22:23], v[121:122], v[123:124], v[22:23]
	;; [unrolled: 1-line block ×3, first 2 shown]
	v_cmp_eq_u64_e32 vcc, 0, v[52:53]
	v_add_u32_e32 v62, 8, v62
	v_mul_f64 v[18:19], v[18:19], s[12:13]
	s_or_b64 s[16:17], vcc, s[16:17]
	v_fma_f64 v[54:55], v[26:27], v[18:19], v[54:55]
	v_fma_f64 v[56:57], v[18:19], v[99:100], v[56:57]
	v_fma_f64 v[58:59], v[18:19], v[22:23], v[58:59]
	v_fma_f64 v[60:61], v[18:19], v[97:98], v[60:61]
	v_mov_b32_e32 v18, v63
	v_mov_b32_e32 v22, v65
	;; [unrolled: 1-line block ×6, first 2 shown]
	s_andn2_b64 exec, exec, s[16:17]
	s_cbranch_execnz .LBB1_285
; %bb.286:                              ;   in Loop: Header=BB1_131 Depth=1
	s_or_b64 exec, exec, s[16:17]
	v_fma_f64 v[8:9], v[2:3], v[54:55], v[8:9]
	v_fma_f64 v[10:11], v[2:3], v[56:57], v[10:11]
	;; [unrolled: 1-line block ×4, first 2 shown]
	s_branch .LBB1_130
.LBB1_287:
	s_or_b64 exec, exec, s[8:9]
.LBB1_288:
	s_or_b64 exec, exec, s[6:7]
	buffer_load_dword v16, off, s[0:3], 0 offset:4
	s_mov_b32 s4, 0xc0c0004
	v_lshlrev_b16_e32 v17, 8, v82
	v_lshlrev_b16_e32 v18, 8, v81
	v_or_b32_sdwa v17, v40, v17 dst_sel:DWORD dst_unused:UNUSED_PAD src0_sel:BYTE_0 src1_sel:DWORD
	v_or_b32_sdwa v18, v42, v18 dst_sel:DWORD dst_unused:UNUSED_PAD src0_sel:BYTE_0 src1_sel:DWORD
	v_perm_b32 v42, v45, v79, s4
	v_perm_b32 v45, v77, v48, s4
	v_lshlrev_b16_e32 v19, 8, v80
	v_perm_b32 v24, v41, v74, s4
	v_perm_b32 v26, v71, v46, s4
	;; [unrolled: 1-line block ×4, first 2 shown]
	v_and_b32_e32 v47, 0xffff, v17
	v_lshlrev_b32_e32 v45, 16, v45
	v_lshrrev_b32_e32 v53, 8, v26
	v_lshl_or_b32 v26, v26, 16, v47
	v_or_b32_e32 v44, v44, v45
	v_or_b32_e32 v19, v19, v45
	v_lshrrev_b32_e32 v45, 8, v47
	v_perm_b32 v25, v69, v68, s4
	v_perm_b32 v27, v43, v78, s4
	;; [unrolled: 1-line block ×4, first 2 shown]
	v_lshl_or_b32 v46, v25, 16, v24
	v_lshrrev_b32_e32 v52, 8, v24
	v_and_b32_e32 v23, 0xff, v69
	v_lshrrev_b32_e32 v25, 8, v25
	v_and_b32_e32 v22, 0xff, v71
	v_and_b32_e32 v21, 0xff, v72
	v_lshl_or_b32 v48, v40, 16, v27
	v_lshrrev_b32_e32 v40, 8, v40
	v_lshrrev_b32_e32 v51, 8, v27
	v_and_b32_e32 v49, 0xffff, v18
	v_and_b32_e32 v20, 0xff, v75
	v_lshlrev_b32_e32 v50, 16, v43
	v_or_b32_e32 v50, v42, v50
	v_lshl_or_b32 v54, v41, 16, v49
	s_waitcnt vmcnt(0)
	v_and_b32_e32 v47, 1, v16
	v_cmp_ne_u32_e64 s[4:5], 20, v47
	v_cmp_eq_u32_e32 vcc, 0, v47
	v_cndmask_b32_e64 v24, 1, v24, s[4:5]
	v_cmp_ne_u32_e64 s[4:5], 21, v47
	v_cndmask_b32_e32 v19, v19, v44, vcc
	v_cndmask_b32_e64 v44, 1, v52, s[4:5]
	v_cmp_ne_u32_e64 s[4:5], 22, v47
	v_cndmask_b32_e64 v23, 1, v23, s[4:5]
	v_cmp_ne_u32_e64 s[4:5], 23, v47
	;; [unrolled: 2-line block ×6, first 2 shown]
	v_cndmask_b32_e64 v52, 1, v53, s[4:5]
	v_cndmask_b32_e64 v53, v19, 1, vcc
	v_lshrrev_b32_e32 v56, 8, v19
	v_cmp_eq_u32_e32 vcc, 1, v47
	v_lshrrev_b32_e32 v57, 24, v19
	v_cndmask_b32_e64 v56, v56, 1, vcc
	v_cmp_ne_u32_e32 vcc, 3, v47
	v_lshrrev_b32_e32 v58, 16, v19
	v_cndmask_b32_e32 v57, 1, v57, vcc
	v_cmp_ne_u32_e32 vcc, 2, v47
	v_cmp_ne_u32_e64 s[4:5], 12, v47
	v_lshlrev_b16_e32 v44, 8, v44
	v_lshlrev_b16_e32 v25, 8, v25
	;; [unrolled: 1-line block ×4, first 2 shown]
	v_cndmask_b32_e32 v58, 1, v58, vcc
	v_cmp_ne_u32_e32 vcc, 14, v47
	v_cndmask_b32_e64 v27, 1, v27, s[4:5]
	v_cmp_ne_u32_e64 s[4:5], 13, v47
	v_or_b32_sdwa v24, v24, v44 dst_sel:DWORD dst_unused:UNUSED_PAD src0_sel:BYTE_0 src1_sel:DWORD
	v_or_b32_sdwa v23, v23, v25 dst_sel:WORD_1 dst_unused:UNUSED_PAD src0_sel:DWORD src1_sel:DWORD
	v_or_b32_sdwa v17, v17, v45 dst_sel:DWORD dst_unused:UNUSED_PAD src0_sel:BYTE_0 src1_sel:DWORD
	v_or_b32_sdwa v22, v22, v52 dst_sel:WORD_1 dst_unused:UNUSED_PAD src0_sel:DWORD src1_sel:DWORD
	v_lshlrev_b16_e32 v25, 8, v56
	v_lshlrev_b16_e32 v44, 8, v57
	v_cndmask_b32_e32 v21, 1, v21, vcc
	v_cmp_ne_u32_e32 vcc, 15, v47
	v_cndmask_b32_e64 v51, 1, v51, s[4:5]
	v_or_b32_sdwa v23, v24, v23 dst_sel:DWORD dst_unused:UNUSED_PAD src0_sel:WORD_0 src1_sel:DWORD
	v_or_b32_sdwa v17, v17, v22 dst_sel:DWORD dst_unused:UNUSED_PAD src0_sel:WORD_0 src1_sel:DWORD
	v_or_b32_sdwa v22, v53, v25 dst_sel:DWORD dst_unused:UNUSED_PAD src0_sel:BYTE_0 src1_sel:DWORD
	v_or_b32_sdwa v24, v58, v44 dst_sel:WORD_1 dst_unused:UNUSED_PAD src0_sel:BYTE_0 src1_sel:DWORD
	v_cndmask_b32_e32 v25, 1, v40, vcc
	v_or_b32_sdwa v22, v22, v24 dst_sel:DWORD dst_unused:UNUSED_PAD src0_sel:WORD_0 src1_sel:DWORD
	v_lshlrev_b16_e32 v24, 8, v51
	v_lshlrev_b16_e32 v25, 8, v25
	v_or_b32_sdwa v24, v27, v24 dst_sel:DWORD dst_unused:UNUSED_PAD src0_sel:BYTE_0 src1_sel:DWORD
	v_or_b32_sdwa v21, v21, v25 dst_sel:WORD_1 dst_unused:UNUSED_PAD src0_sel:DWORD src1_sel:DWORD
	v_cmp_ne_u32_e32 vcc, 8, v47
	v_or_b32_sdwa v21, v24, v21 dst_sel:DWORD dst_unused:UNUSED_PAD src0_sel:WORD_0 src1_sel:DWORD
	v_cndmask_b32_e32 v18, 1, v18, vcc
	v_lshrrev_b32_e32 v24, 8, v49
	v_cmp_ne_u32_e32 vcc, 9, v47
	v_cndmask_b32_e32 v24, 1, v24, vcc
	v_lshlrev_b16_e32 v24, 8, v24
	v_cmp_ne_u32_e32 vcc, 10, v47
	v_or_b32_sdwa v18, v18, v24 dst_sel:DWORD dst_unused:UNUSED_PAD src0_sel:BYTE_0 src1_sel:DWORD
	v_cndmask_b32_e32 v20, 1, v20, vcc
	v_lshrrev_b32_e32 v24, 8, v41
	v_cmp_ne_u32_e32 vcc, 11, v47
	v_cndmask_b32_e32 v24, 1, v24, vcc
	v_lshlrev_b16_e32 v24, 8, v24
	v_or_b32_sdwa v20, v20, v24 dst_sel:WORD_1 dst_unused:UNUSED_PAD src0_sel:DWORD src1_sel:DWORD
	v_or_b32_sdwa v18, v18, v20 dst_sel:DWORD dst_unused:UNUSED_PAD src0_sel:WORD_0 src1_sel:DWORD
	v_lshrrev_b32_e32 v20, 8, v50
	v_cmp_ne_u32_e32 vcc, 5, v47
	v_cndmask_b32_e32 v20, 1, v20, vcc
	v_cmp_ne_u32_e32 vcc, 4, v47
	v_lshlrev_b16_e32 v20, 8, v20
	v_cndmask_b32_e32 v24, 1, v42, vcc
	v_cmp_ne_u32_e32 vcc, 6, v47
	v_or_b32_sdwa v20, v24, v20 dst_sel:DWORD dst_unused:UNUSED_PAD src0_sel:BYTE_0 src1_sel:DWORD
	v_cndmask_b32_e32 v24, 1, v43, vcc
	v_bfe_u32 v25, v43, 8, 8
	v_cmp_ne_u32_e32 vcc, 7, v47
	v_and_b32_e32 v55, 2, v16
	v_cndmask_b32_e32 v25, 1, v25, vcc
	v_lshlrev_b16_e32 v25, 8, v25
	v_cmp_eq_u32_e32 vcc, 0, v55
	v_or_b32_sdwa v24, v24, v25 dst_sel:WORD_1 dst_unused:UNUSED_PAD src0_sel:BYTE_0 src1_sel:DWORD
	v_cndmask_b32_e32 v19, v22, v19, vcc
	v_cndmask_b32_e32 v22, v23, v46, vcc
	v_bfe_u32 v23, v16, 1, 1
	v_or_b32_sdwa v20, v20, v24 dst_sel:DWORD dst_unused:UNUSED_PAD src0_sel:WORD_0 src1_sel:DWORD
	v_add_u32_e32 v23, v23, v47
	v_cndmask_b32_e32 v20, v20, v50, vcc
	v_cndmask_b32_e32 v18, v18, v54, vcc
	;; [unrolled: 1-line block ×4, first 2 shown]
	v_cmp_ne_u32_e32 vcc, 0, v23
	v_cndmask_b32_e32 v25, 2, v19, vcc
	v_lshrrev_b32_e32 v26, 8, v19
	v_cmp_ne_u32_e32 vcc, 1, v23
	v_cndmask_b32_e32 v26, 2, v26, vcc
	v_lshlrev_b16_e32 v26, 8, v26
	v_or_b32_sdwa v25, v25, v26 dst_sel:DWORD dst_unused:UNUSED_PAD src0_sel:BYTE_0 src1_sel:DWORD
	v_lshrrev_b32_e32 v26, 24, v19
	v_cmp_ne_u32_e32 vcc, 3, v23
	v_cndmask_b32_e32 v26, 2, v26, vcc
	v_lshrrev_b32_e32 v27, 16, v19
	v_cmp_ne_u32_e32 vcc, 2, v23
	v_lshlrev_b16_e32 v26, 8, v26
	v_cndmask_b32_e32 v27, 2, v27, vcc
	v_or_b32_sdwa v26, v27, v26 dst_sel:WORD_1 dst_unused:UNUSED_PAD src0_sel:BYTE_0 src1_sel:DWORD
	v_cmp_ne_u32_e32 vcc, 20, v23
	v_or_b32_sdwa v25, v25, v26 dst_sel:DWORD dst_unused:UNUSED_PAD src0_sel:WORD_0 src1_sel:DWORD
	v_cndmask_b32_e32 v26, 2, v22, vcc
	v_lshrrev_b32_e32 v27, 8, v22
	v_cmp_ne_u32_e32 vcc, 21, v23
	v_cndmask_b32_e32 v27, 2, v27, vcc
	v_lshlrev_b16_e32 v27, 8, v27
	v_or_b32_sdwa v26, v26, v27 dst_sel:DWORD dst_unused:UNUSED_PAD src0_sel:BYTE_0 src1_sel:DWORD
	v_lshrrev_b32_e32 v27, 24, v22
	v_cmp_ne_u32_e32 vcc, 23, v23
	v_cndmask_b32_e32 v27, 2, v27, vcc
	v_lshrrev_b32_e32 v40, 16, v22
	v_cmp_ne_u32_e32 vcc, 22, v23
	v_lshlrev_b16_e32 v27, 8, v27
	v_cndmask_b32_e32 v40, 2, v40, vcc
	v_or_b32_sdwa v27, v40, v27 dst_sel:WORD_1 dst_unused:UNUSED_PAD src0_sel:BYTE_0 src1_sel:DWORD
	v_cmp_ne_u32_e32 vcc, 16, v23
	v_or_b32_sdwa v26, v26, v27 dst_sel:DWORD dst_unused:UNUSED_PAD src0_sel:WORD_0 src1_sel:DWORD
	;; [unrolled: 16-line block ×5, first 2 shown]
	v_cndmask_b32_e32 v42, 2, v20, vcc
	v_lshrrev_b32_e32 v43, 8, v20
	v_cmp_ne_u32_e32 vcc, 5, v23
	v_cndmask_b32_e32 v43, 2, v43, vcc
	v_lshlrev_b16_e32 v43, 8, v43
	v_or_b32_sdwa v42, v42, v43 dst_sel:DWORD dst_unused:UNUSED_PAD src0_sel:BYTE_0 src1_sel:DWORD
	v_lshrrev_b32_e32 v43, 24, v20
	v_cmp_ne_u32_e32 vcc, 7, v23
	v_cndmask_b32_e32 v43, 2, v43, vcc
	v_lshrrev_b32_e32 v44, 16, v20
	v_cmp_ne_u32_e32 vcc, 6, v23
	v_and_b32_e32 v24, 4, v16
	v_lshlrev_b16_e32 v43, 8, v43
	v_cndmask_b32_e32 v44, 2, v44, vcc
	v_or_b32_sdwa v43, v44, v43 dst_sel:WORD_1 dst_unused:UNUSED_PAD src0_sel:BYTE_0 src1_sel:DWORD
	v_cmp_eq_u32_e32 vcc, 0, v24
	v_bfe_u32 v24, v16, 2, 1
	v_or_b32_sdwa v42, v42, v43 dst_sel:DWORD dst_unused:UNUSED_PAD src0_sel:WORD_0 src1_sel:DWORD
	v_add_u32_e32 v23, v23, v24
	v_cndmask_b32_e32 v19, v25, v19, vcc
	v_cndmask_b32_e32 v20, v42, v20, vcc
	;; [unrolled: 1-line block ×6, first 2 shown]
	v_cmp_ne_u32_e32 vcc, 0, v23
	v_cndmask_b32_e32 v25, 3, v19, vcc
	v_lshrrev_b32_e32 v26, 8, v19
	v_cmp_ne_u32_e32 vcc, 1, v23
	v_cndmask_b32_e32 v26, 3, v26, vcc
	v_lshlrev_b16_e32 v26, 8, v26
	v_or_b32_sdwa v25, v25, v26 dst_sel:DWORD dst_unused:UNUSED_PAD src0_sel:BYTE_0 src1_sel:DWORD
	v_lshrrev_b32_e32 v26, 24, v19
	v_cmp_ne_u32_e32 vcc, 3, v23
	v_cndmask_b32_e32 v26, 3, v26, vcc
	v_lshrrev_b32_e32 v27, 16, v19
	v_cmp_ne_u32_e32 vcc, 2, v23
	v_lshlrev_b16_e32 v26, 8, v26
	v_cndmask_b32_e32 v27, 3, v27, vcc
	v_or_b32_sdwa v26, v27, v26 dst_sel:WORD_1 dst_unused:UNUSED_PAD src0_sel:BYTE_0 src1_sel:DWORD
	v_cmp_ne_u32_e32 vcc, 20, v23
	v_or_b32_sdwa v25, v25, v26 dst_sel:DWORD dst_unused:UNUSED_PAD src0_sel:WORD_0 src1_sel:DWORD
	v_cndmask_b32_e32 v26, 3, v22, vcc
	v_lshrrev_b32_e32 v27, 8, v22
	v_cmp_ne_u32_e32 vcc, 21, v23
	v_cndmask_b32_e32 v27, 3, v27, vcc
	v_lshlrev_b16_e32 v27, 8, v27
	v_or_b32_sdwa v26, v26, v27 dst_sel:DWORD dst_unused:UNUSED_PAD src0_sel:BYTE_0 src1_sel:DWORD
	v_lshrrev_b32_e32 v27, 24, v22
	v_cmp_ne_u32_e32 vcc, 23, v23
	v_cndmask_b32_e32 v27, 3, v27, vcc
	v_lshrrev_b32_e32 v40, 16, v22
	v_cmp_ne_u32_e32 vcc, 22, v23
	v_lshlrev_b16_e32 v27, 8, v27
	v_cndmask_b32_e32 v40, 3, v40, vcc
	v_or_b32_sdwa v27, v40, v27 dst_sel:WORD_1 dst_unused:UNUSED_PAD src0_sel:BYTE_0 src1_sel:DWORD
	v_cmp_ne_u32_e32 vcc, 16, v23
	v_or_b32_sdwa v26, v26, v27 dst_sel:DWORD dst_unused:UNUSED_PAD src0_sel:WORD_0 src1_sel:DWORD
	;; [unrolled: 16-line block ×5, first 2 shown]
	v_cndmask_b32_e32 v42, 3, v20, vcc
	v_lshrrev_b32_e32 v43, 8, v20
	v_cmp_ne_u32_e32 vcc, 5, v23
	v_cndmask_b32_e32 v43, 3, v43, vcc
	v_lshlrev_b16_e32 v43, 8, v43
	v_or_b32_sdwa v42, v42, v43 dst_sel:DWORD dst_unused:UNUSED_PAD src0_sel:BYTE_0 src1_sel:DWORD
	v_lshrrev_b32_e32 v43, 24, v20
	v_cmp_ne_u32_e32 vcc, 7, v23
	v_cndmask_b32_e32 v43, 3, v43, vcc
	v_lshrrev_b32_e32 v44, 16, v20
	v_cmp_ne_u32_e32 vcc, 6, v23
	v_and_b32_e32 v24, 8, v16
	v_lshlrev_b16_e32 v43, 8, v43
	v_cndmask_b32_e32 v44, 3, v44, vcc
	v_or_b32_sdwa v43, v44, v43 dst_sel:WORD_1 dst_unused:UNUSED_PAD src0_sel:BYTE_0 src1_sel:DWORD
	v_cmp_eq_u32_e32 vcc, 0, v24
	v_bfe_u32 v24, v16, 3, 1
	v_or_b32_sdwa v42, v42, v43 dst_sel:DWORD dst_unused:UNUSED_PAD src0_sel:WORD_0 src1_sel:DWORD
	v_add_u32_e32 v23, v23, v24
	v_cndmask_b32_e32 v19, v25, v19, vcc
	v_cndmask_b32_e32 v20, v42, v20, vcc
	;; [unrolled: 1-line block ×6, first 2 shown]
	v_cmp_ne_u32_e32 vcc, 0, v23
	v_cndmask_b32_e32 v25, 4, v19, vcc
	v_lshrrev_b32_e32 v26, 8, v19
	v_cmp_ne_u32_e32 vcc, 1, v23
	v_cndmask_b32_e32 v26, 4, v26, vcc
	v_lshlrev_b16_e32 v26, 8, v26
	v_or_b32_sdwa v25, v25, v26 dst_sel:DWORD dst_unused:UNUSED_PAD src0_sel:BYTE_0 src1_sel:DWORD
	v_lshrrev_b32_e32 v26, 24, v19
	v_cmp_ne_u32_e32 vcc, 3, v23
	v_cndmask_b32_e32 v26, 4, v26, vcc
	v_lshrrev_b32_e32 v27, 16, v19
	v_cmp_ne_u32_e32 vcc, 2, v23
	v_lshlrev_b16_e32 v26, 8, v26
	v_cndmask_b32_e32 v27, 4, v27, vcc
	v_or_b32_sdwa v26, v27, v26 dst_sel:WORD_1 dst_unused:UNUSED_PAD src0_sel:BYTE_0 src1_sel:DWORD
	v_cmp_ne_u32_e32 vcc, 20, v23
	v_or_b32_sdwa v25, v25, v26 dst_sel:DWORD dst_unused:UNUSED_PAD src0_sel:WORD_0 src1_sel:DWORD
	v_cndmask_b32_e32 v26, 4, v22, vcc
	v_lshrrev_b32_e32 v27, 8, v22
	v_cmp_ne_u32_e32 vcc, 21, v23
	v_cndmask_b32_e32 v27, 4, v27, vcc
	v_lshlrev_b16_e32 v27, 8, v27
	v_or_b32_sdwa v26, v26, v27 dst_sel:DWORD dst_unused:UNUSED_PAD src0_sel:BYTE_0 src1_sel:DWORD
	v_lshrrev_b32_e32 v27, 24, v22
	v_cmp_ne_u32_e32 vcc, 23, v23
	v_cndmask_b32_e32 v27, 4, v27, vcc
	v_lshrrev_b32_e32 v40, 16, v22
	v_cmp_ne_u32_e32 vcc, 22, v23
	v_lshlrev_b16_e32 v27, 8, v27
	v_cndmask_b32_e32 v40, 4, v40, vcc
	v_or_b32_sdwa v27, v40, v27 dst_sel:WORD_1 dst_unused:UNUSED_PAD src0_sel:BYTE_0 src1_sel:DWORD
	v_cmp_ne_u32_e32 vcc, 16, v23
	v_or_b32_sdwa v26, v26, v27 dst_sel:DWORD dst_unused:UNUSED_PAD src0_sel:WORD_0 src1_sel:DWORD
	;; [unrolled: 16-line block ×5, first 2 shown]
	v_cndmask_b32_e32 v42, 4, v20, vcc
	v_lshrrev_b32_e32 v43, 8, v20
	v_cmp_ne_u32_e32 vcc, 5, v23
	v_cndmask_b32_e32 v43, 4, v43, vcc
	v_lshlrev_b16_e32 v43, 8, v43
	v_or_b32_sdwa v42, v42, v43 dst_sel:DWORD dst_unused:UNUSED_PAD src0_sel:BYTE_0 src1_sel:DWORD
	v_lshrrev_b32_e32 v43, 24, v20
	v_cmp_ne_u32_e32 vcc, 7, v23
	v_cndmask_b32_e32 v43, 4, v43, vcc
	v_lshrrev_b32_e32 v44, 16, v20
	v_cmp_ne_u32_e32 vcc, 6, v23
	v_and_b32_e32 v24, 16, v16
	v_lshlrev_b16_e32 v43, 8, v43
	v_cndmask_b32_e32 v44, 4, v44, vcc
	v_or_b32_sdwa v43, v44, v43 dst_sel:WORD_1 dst_unused:UNUSED_PAD src0_sel:BYTE_0 src1_sel:DWORD
	v_cmp_eq_u32_e32 vcc, 0, v24
	v_bfe_u32 v24, v16, 4, 1
	v_or_b32_sdwa v42, v42, v43 dst_sel:DWORD dst_unused:UNUSED_PAD src0_sel:WORD_0 src1_sel:DWORD
	v_add_u32_e32 v23, v23, v24
	v_cndmask_b32_e32 v19, v25, v19, vcc
	v_cndmask_b32_e32 v20, v42, v20, vcc
	;; [unrolled: 1-line block ×6, first 2 shown]
	v_cmp_ne_u32_e32 vcc, 0, v23
	v_cndmask_b32_e32 v25, 5, v19, vcc
	v_lshrrev_b32_e32 v26, 8, v19
	v_cmp_ne_u32_e32 vcc, 1, v23
	v_cndmask_b32_e32 v26, 5, v26, vcc
	v_lshlrev_b16_e32 v26, 8, v26
	v_or_b32_sdwa v25, v25, v26 dst_sel:DWORD dst_unused:UNUSED_PAD src0_sel:BYTE_0 src1_sel:DWORD
	v_lshrrev_b32_e32 v26, 24, v19
	v_cmp_ne_u32_e32 vcc, 3, v23
	v_cndmask_b32_e32 v26, 5, v26, vcc
	v_lshrrev_b32_e32 v27, 16, v19
	v_cmp_ne_u32_e32 vcc, 2, v23
	v_lshlrev_b16_e32 v26, 8, v26
	v_cndmask_b32_e32 v27, 5, v27, vcc
	v_or_b32_sdwa v26, v27, v26 dst_sel:WORD_1 dst_unused:UNUSED_PAD src0_sel:BYTE_0 src1_sel:DWORD
	v_cmp_ne_u32_e32 vcc, 20, v23
	v_or_b32_sdwa v25, v25, v26 dst_sel:DWORD dst_unused:UNUSED_PAD src0_sel:WORD_0 src1_sel:DWORD
	v_cndmask_b32_e32 v26, 5, v22, vcc
	v_lshrrev_b32_e32 v27, 8, v22
	v_cmp_ne_u32_e32 vcc, 21, v23
	v_cndmask_b32_e32 v27, 5, v27, vcc
	v_lshlrev_b16_e32 v27, 8, v27
	v_or_b32_sdwa v26, v26, v27 dst_sel:DWORD dst_unused:UNUSED_PAD src0_sel:BYTE_0 src1_sel:DWORD
	v_lshrrev_b32_e32 v27, 24, v22
	v_cmp_ne_u32_e32 vcc, 23, v23
	v_cndmask_b32_e32 v27, 5, v27, vcc
	v_lshrrev_b32_e32 v40, 16, v22
	v_cmp_ne_u32_e32 vcc, 22, v23
	v_lshlrev_b16_e32 v27, 8, v27
	v_cndmask_b32_e32 v40, 5, v40, vcc
	v_or_b32_sdwa v27, v40, v27 dst_sel:WORD_1 dst_unused:UNUSED_PAD src0_sel:BYTE_0 src1_sel:DWORD
	v_cmp_ne_u32_e32 vcc, 16, v23
	v_or_b32_sdwa v26, v26, v27 dst_sel:DWORD dst_unused:UNUSED_PAD src0_sel:WORD_0 src1_sel:DWORD
	;; [unrolled: 16-line block ×5, first 2 shown]
	v_cndmask_b32_e32 v42, 5, v20, vcc
	v_lshrrev_b32_e32 v43, 8, v20
	v_cmp_ne_u32_e32 vcc, 5, v23
	v_cndmask_b32_e32 v43, 5, v43, vcc
	v_lshlrev_b16_e32 v43, 8, v43
	v_or_b32_sdwa v42, v42, v43 dst_sel:DWORD dst_unused:UNUSED_PAD src0_sel:BYTE_0 src1_sel:DWORD
	v_lshrrev_b32_e32 v43, 24, v20
	v_cmp_ne_u32_e32 vcc, 7, v23
	v_cndmask_b32_e32 v43, 5, v43, vcc
	v_lshrrev_b32_e32 v44, 16, v20
	v_cmp_ne_u32_e32 vcc, 6, v23
	v_and_b32_e32 v24, 32, v16
	v_lshlrev_b16_e32 v43, 8, v43
	v_cndmask_b32_e32 v44, 5, v44, vcc
	v_or_b32_sdwa v43, v44, v43 dst_sel:WORD_1 dst_unused:UNUSED_PAD src0_sel:BYTE_0 src1_sel:DWORD
	v_cmp_eq_u32_e32 vcc, 0, v24
	v_bfe_u32 v24, v16, 5, 1
	v_or_b32_sdwa v42, v42, v43 dst_sel:DWORD dst_unused:UNUSED_PAD src0_sel:WORD_0 src1_sel:DWORD
	v_add_u32_e32 v23, v23, v24
	v_cndmask_b32_e32 v19, v25, v19, vcc
	v_cndmask_b32_e32 v20, v42, v20, vcc
	;; [unrolled: 1-line block ×6, first 2 shown]
	v_cmp_ne_u32_e32 vcc, 0, v23
	v_cndmask_b32_e32 v25, 6, v19, vcc
	v_lshrrev_b32_e32 v26, 8, v19
	v_cmp_ne_u32_e32 vcc, 1, v23
	v_cndmask_b32_e32 v26, 6, v26, vcc
	v_lshlrev_b16_e32 v26, 8, v26
	v_or_b32_sdwa v25, v25, v26 dst_sel:DWORD dst_unused:UNUSED_PAD src0_sel:BYTE_0 src1_sel:DWORD
	v_lshrrev_b32_e32 v26, 24, v19
	v_cmp_ne_u32_e32 vcc, 3, v23
	v_cndmask_b32_e32 v26, 6, v26, vcc
	v_lshrrev_b32_e32 v27, 16, v19
	v_cmp_ne_u32_e32 vcc, 2, v23
	v_lshlrev_b16_e32 v26, 8, v26
	v_cndmask_b32_e32 v27, 6, v27, vcc
	v_or_b32_sdwa v26, v27, v26 dst_sel:WORD_1 dst_unused:UNUSED_PAD src0_sel:BYTE_0 src1_sel:DWORD
	v_cmp_ne_u32_e32 vcc, 20, v23
	v_or_b32_sdwa v25, v25, v26 dst_sel:DWORD dst_unused:UNUSED_PAD src0_sel:WORD_0 src1_sel:DWORD
	v_cndmask_b32_e32 v26, 6, v22, vcc
	v_lshrrev_b32_e32 v27, 8, v22
	v_cmp_ne_u32_e32 vcc, 21, v23
	v_cndmask_b32_e32 v27, 6, v27, vcc
	v_lshlrev_b16_e32 v27, 8, v27
	v_or_b32_sdwa v26, v26, v27 dst_sel:DWORD dst_unused:UNUSED_PAD src0_sel:BYTE_0 src1_sel:DWORD
	v_lshrrev_b32_e32 v27, 24, v22
	v_cmp_ne_u32_e32 vcc, 23, v23
	v_cndmask_b32_e32 v27, 6, v27, vcc
	v_lshrrev_b32_e32 v40, 16, v22
	v_cmp_ne_u32_e32 vcc, 22, v23
	v_lshlrev_b16_e32 v27, 8, v27
	v_cndmask_b32_e32 v40, 6, v40, vcc
	v_or_b32_sdwa v27, v40, v27 dst_sel:WORD_1 dst_unused:UNUSED_PAD src0_sel:BYTE_0 src1_sel:DWORD
	v_cmp_ne_u32_e32 vcc, 16, v23
	v_or_b32_sdwa v26, v26, v27 dst_sel:DWORD dst_unused:UNUSED_PAD src0_sel:WORD_0 src1_sel:DWORD
	v_cndmask_b32_e32 v27, 6, v17, vcc
	v_lshrrev_b32_e32 v40, 8, v17
	v_cmp_ne_u32_e32 vcc, 17, v23
	v_cndmask_b32_e32 v40, 6, v40, vcc
	v_lshlrev_b16_e32 v40, 8, v40
	v_or_b32_sdwa v27, v27, v40 dst_sel:DWORD dst_unused:UNUSED_PAD src0_sel:BYTE_0 src1_sel:DWORD
	v_lshrrev_b32_e32 v40, 24, v17
	v_cmp_ne_u32_e32 vcc, 19, v23
	v_cndmask_b32_e32 v40, 6, v40, vcc
	v_lshrrev_b32_e32 v41, 16, v17
	v_cmp_ne_u32_e32 vcc, 18, v23
	v_lshlrev_b16_e32 v40, 8, v40
	v_cndmask_b32_e32 v41, 6, v41, vcc
	v_or_b32_sdwa v40, v41, v40 dst_sel:WORD_1 dst_unused:UNUSED_PAD src0_sel:BYTE_0 src1_sel:DWORD
	v_cmp_ne_u32_e32 vcc, 12, v23
	v_or_b32_sdwa v27, v27, v40 dst_sel:DWORD dst_unused:UNUSED_PAD src0_sel:WORD_0 src1_sel:DWORD
	v_cndmask_b32_e32 v40, 6, v21, vcc
	v_lshrrev_b32_e32 v41, 8, v21
	v_cmp_ne_u32_e32 vcc, 13, v23
	v_cndmask_b32_e32 v41, 6, v41, vcc
	v_lshlrev_b16_e32 v41, 8, v41
	v_or_b32_sdwa v40, v40, v41 dst_sel:DWORD dst_unused:UNUSED_PAD src0_sel:BYTE_0 src1_sel:DWORD
	v_lshrrev_b32_e32 v41, 24, v21
	v_cmp_ne_u32_e32 vcc, 15, v23
	v_cndmask_b32_e32 v41, 6, v41, vcc
	v_lshrrev_b32_e32 v42, 16, v21
	v_cmp_ne_u32_e32 vcc, 14, v23
	v_lshlrev_b16_e32 v41, 8, v41
	v_cndmask_b32_e32 v42, 6, v42, vcc
	v_or_b32_sdwa v41, v42, v41 dst_sel:WORD_1 dst_unused:UNUSED_PAD src0_sel:BYTE_0 src1_sel:DWORD
	v_cmp_ne_u32_e32 vcc, 8, v23
	v_or_b32_sdwa v40, v40, v41 dst_sel:DWORD dst_unused:UNUSED_PAD src0_sel:WORD_0 src1_sel:DWORD
	v_cndmask_b32_e32 v41, 6, v18, vcc
	v_lshrrev_b32_e32 v42, 8, v18
	v_cmp_ne_u32_e32 vcc, 9, v23
	v_cndmask_b32_e32 v42, 6, v42, vcc
	v_lshlrev_b16_e32 v42, 8, v42
	v_or_b32_sdwa v41, v41, v42 dst_sel:DWORD dst_unused:UNUSED_PAD src0_sel:BYTE_0 src1_sel:DWORD
	v_lshrrev_b32_e32 v42, 24, v18
	v_cmp_ne_u32_e32 vcc, 11, v23
	v_cndmask_b32_e32 v42, 6, v42, vcc
	v_lshrrev_b32_e32 v43, 16, v18
	v_cmp_ne_u32_e32 vcc, 10, v23
	v_lshlrev_b16_e32 v42, 8, v42
	v_cndmask_b32_e32 v43, 6, v43, vcc
	v_or_b32_sdwa v42, v43, v42 dst_sel:WORD_1 dst_unused:UNUSED_PAD src0_sel:BYTE_0 src1_sel:DWORD
	v_cmp_ne_u32_e32 vcc, 4, v23
	v_or_b32_sdwa v41, v41, v42 dst_sel:DWORD dst_unused:UNUSED_PAD src0_sel:WORD_0 src1_sel:DWORD
	v_cndmask_b32_e32 v42, 6, v20, vcc
	v_lshrrev_b32_e32 v43, 8, v20
	v_cmp_ne_u32_e32 vcc, 5, v23
	v_cndmask_b32_e32 v43, 6, v43, vcc
	v_lshlrev_b16_e32 v43, 8, v43
	v_or_b32_sdwa v42, v42, v43 dst_sel:DWORD dst_unused:UNUSED_PAD src0_sel:BYTE_0 src1_sel:DWORD
	v_lshrrev_b32_e32 v43, 24, v20
	v_cmp_ne_u32_e32 vcc, 7, v23
	v_cndmask_b32_e32 v43, 6, v43, vcc
	v_lshrrev_b32_e32 v44, 16, v20
	v_cmp_ne_u32_e32 vcc, 6, v23
	v_and_b32_e32 v24, 64, v16
	v_lshlrev_b16_e32 v43, 8, v43
	v_cndmask_b32_e32 v44, 6, v44, vcc
	v_or_b32_sdwa v43, v44, v43 dst_sel:WORD_1 dst_unused:UNUSED_PAD src0_sel:BYTE_0 src1_sel:DWORD
	v_cmp_eq_u32_e32 vcc, 0, v24
	v_bfe_u32 v24, v16, 6, 1
	v_or_b32_sdwa v42, v42, v43 dst_sel:DWORD dst_unused:UNUSED_PAD src0_sel:WORD_0 src1_sel:DWORD
	v_add_u32_e32 v23, v23, v24
	v_cndmask_b32_e32 v19, v25, v19, vcc
	v_cndmask_b32_e32 v20, v42, v20, vcc
	;; [unrolled: 1-line block ×6, first 2 shown]
	v_cmp_ne_u32_e32 vcc, 0, v23
	v_cndmask_b32_e32 v25, 7, v19, vcc
	v_lshrrev_b32_e32 v26, 8, v19
	v_cmp_ne_u32_e32 vcc, 1, v23
	v_cndmask_b32_e32 v26, 7, v26, vcc
	v_lshlrev_b16_e32 v26, 8, v26
	v_or_b32_sdwa v25, v25, v26 dst_sel:DWORD dst_unused:UNUSED_PAD src0_sel:BYTE_0 src1_sel:DWORD
	v_lshrrev_b32_e32 v26, 24, v19
	v_cmp_ne_u32_e32 vcc, 3, v23
	v_cndmask_b32_e32 v26, 7, v26, vcc
	v_lshrrev_b32_e32 v27, 16, v19
	v_cmp_ne_u32_e32 vcc, 2, v23
	v_lshlrev_b16_e32 v26, 8, v26
	v_cndmask_b32_e32 v27, 7, v27, vcc
	v_or_b32_sdwa v26, v27, v26 dst_sel:WORD_1 dst_unused:UNUSED_PAD src0_sel:BYTE_0 src1_sel:DWORD
	v_cmp_ne_u32_e32 vcc, 20, v23
	v_or_b32_sdwa v25, v25, v26 dst_sel:DWORD dst_unused:UNUSED_PAD src0_sel:WORD_0 src1_sel:DWORD
	v_cndmask_b32_e32 v26, 7, v22, vcc
	v_lshrrev_b32_e32 v27, 8, v22
	v_cmp_ne_u32_e32 vcc, 21, v23
	v_cndmask_b32_e32 v27, 7, v27, vcc
	v_lshlrev_b16_e32 v27, 8, v27
	v_or_b32_sdwa v26, v26, v27 dst_sel:DWORD dst_unused:UNUSED_PAD src0_sel:BYTE_0 src1_sel:DWORD
	v_lshrrev_b32_e32 v27, 24, v22
	v_cmp_ne_u32_e32 vcc, 23, v23
	v_cndmask_b32_e32 v27, 7, v27, vcc
	v_lshrrev_b32_e32 v40, 16, v22
	v_cmp_ne_u32_e32 vcc, 22, v23
	v_lshlrev_b16_e32 v27, 8, v27
	v_cndmask_b32_e32 v40, 7, v40, vcc
	v_or_b32_sdwa v27, v40, v27 dst_sel:WORD_1 dst_unused:UNUSED_PAD src0_sel:BYTE_0 src1_sel:DWORD
	v_cmp_ne_u32_e32 vcc, 16, v23
	v_or_b32_sdwa v26, v26, v27 dst_sel:DWORD dst_unused:UNUSED_PAD src0_sel:WORD_0 src1_sel:DWORD
	;; [unrolled: 16-line block ×5, first 2 shown]
	v_cndmask_b32_e32 v42, 7, v20, vcc
	v_lshrrev_b32_e32 v43, 8, v20
	v_cmp_ne_u32_e32 vcc, 5, v23
	v_cndmask_b32_e32 v43, 7, v43, vcc
	v_lshlrev_b16_e32 v43, 8, v43
	v_or_b32_sdwa v42, v42, v43 dst_sel:DWORD dst_unused:UNUSED_PAD src0_sel:BYTE_0 src1_sel:DWORD
	v_lshrrev_b32_e32 v43, 24, v20
	v_cmp_ne_u32_e32 vcc, 7, v23
	v_cndmask_b32_e32 v43, 7, v43, vcc
	v_lshrrev_b32_e32 v44, 16, v20
	v_cmp_ne_u32_e32 vcc, 6, v23
	v_and_b32_e32 v24, 0x80, v16
	v_lshlrev_b16_e32 v43, 8, v43
	v_cndmask_b32_e32 v44, 7, v44, vcc
	v_or_b32_sdwa v43, v44, v43 dst_sel:WORD_1 dst_unused:UNUSED_PAD src0_sel:BYTE_0 src1_sel:DWORD
	v_cmp_eq_u32_e32 vcc, 0, v24
	v_bfe_u32 v24, v16, 7, 1
	v_or_b32_sdwa v42, v42, v43 dst_sel:DWORD dst_unused:UNUSED_PAD src0_sel:WORD_0 src1_sel:DWORD
	v_add_u32_e32 v23, v23, v24
	v_cndmask_b32_e32 v19, v25, v19, vcc
	v_cndmask_b32_e32 v20, v42, v20, vcc
	;; [unrolled: 1-line block ×6, first 2 shown]
	v_cmp_ne_u32_e32 vcc, 0, v23
	v_cndmask_b32_e32 v25, 8, v19, vcc
	v_lshrrev_b32_e32 v26, 8, v19
	v_cmp_ne_u32_e32 vcc, 1, v23
	v_cndmask_b32_e32 v26, 8, v26, vcc
	v_lshlrev_b16_e32 v26, 8, v26
	v_or_b32_sdwa v25, v25, v26 dst_sel:DWORD dst_unused:UNUSED_PAD src0_sel:BYTE_0 src1_sel:DWORD
	v_lshrrev_b32_e32 v26, 24, v19
	v_cmp_ne_u32_e32 vcc, 3, v23
	v_cndmask_b32_e32 v26, 8, v26, vcc
	v_lshrrev_b32_e32 v27, 16, v19
	v_cmp_ne_u32_e32 vcc, 2, v23
	v_lshlrev_b16_e32 v26, 8, v26
	v_cndmask_b32_e32 v27, 8, v27, vcc
	v_or_b32_sdwa v26, v27, v26 dst_sel:WORD_1 dst_unused:UNUSED_PAD src0_sel:BYTE_0 src1_sel:DWORD
	v_cmp_ne_u32_e32 vcc, 20, v23
	v_or_b32_sdwa v25, v25, v26 dst_sel:DWORD dst_unused:UNUSED_PAD src0_sel:WORD_0 src1_sel:DWORD
	v_cndmask_b32_e32 v26, 8, v22, vcc
	v_lshrrev_b32_e32 v27, 8, v22
	v_cmp_ne_u32_e32 vcc, 21, v23
	v_cndmask_b32_e32 v27, 8, v27, vcc
	v_lshlrev_b16_e32 v27, 8, v27
	v_or_b32_sdwa v26, v26, v27 dst_sel:DWORD dst_unused:UNUSED_PAD src0_sel:BYTE_0 src1_sel:DWORD
	v_lshrrev_b32_e32 v27, 24, v22
	v_cmp_ne_u32_e32 vcc, 23, v23
	v_cndmask_b32_e32 v27, 8, v27, vcc
	v_lshrrev_b32_e32 v40, 16, v22
	v_cmp_ne_u32_e32 vcc, 22, v23
	v_lshlrev_b16_e32 v27, 8, v27
	v_cndmask_b32_e32 v40, 8, v40, vcc
	v_or_b32_sdwa v27, v40, v27 dst_sel:WORD_1 dst_unused:UNUSED_PAD src0_sel:BYTE_0 src1_sel:DWORD
	v_cmp_ne_u32_e32 vcc, 16, v23
	v_or_b32_sdwa v26, v26, v27 dst_sel:DWORD dst_unused:UNUSED_PAD src0_sel:WORD_0 src1_sel:DWORD
	;; [unrolled: 16-line block ×5, first 2 shown]
	v_cndmask_b32_e32 v42, 8, v20, vcc
	v_lshrrev_b32_e32 v43, 8, v20
	v_cmp_ne_u32_e32 vcc, 5, v23
	v_cndmask_b32_e32 v43, 8, v43, vcc
	v_lshlrev_b16_e32 v43, 8, v43
	v_or_b32_sdwa v42, v42, v43 dst_sel:DWORD dst_unused:UNUSED_PAD src0_sel:BYTE_0 src1_sel:DWORD
	v_lshrrev_b32_e32 v43, 24, v20
	v_cmp_ne_u32_e32 vcc, 7, v23
	v_cndmask_b32_e32 v43, 8, v43, vcc
	v_lshrrev_b32_e32 v44, 16, v20
	v_cmp_ne_u32_e32 vcc, 6, v23
	v_and_b32_e32 v24, 0x100, v16
	v_lshlrev_b16_e32 v43, 8, v43
	v_cndmask_b32_e32 v44, 8, v44, vcc
	v_or_b32_sdwa v43, v44, v43 dst_sel:WORD_1 dst_unused:UNUSED_PAD src0_sel:BYTE_0 src1_sel:DWORD
	v_cmp_eq_u32_e32 vcc, 0, v24
	v_bfe_u32 v24, v16, 8, 1
	v_or_b32_sdwa v42, v42, v43 dst_sel:DWORD dst_unused:UNUSED_PAD src0_sel:WORD_0 src1_sel:DWORD
	v_add_u32_e32 v23, v23, v24
	v_cndmask_b32_e32 v19, v25, v19, vcc
	v_cndmask_b32_e32 v20, v42, v20, vcc
	;; [unrolled: 1-line block ×6, first 2 shown]
	v_cmp_ne_u32_e32 vcc, 0, v23
	v_cndmask_b32_e32 v25, 9, v19, vcc
	v_lshrrev_b32_e32 v26, 8, v19
	v_cmp_ne_u32_e32 vcc, 1, v23
	v_cndmask_b32_e32 v26, 9, v26, vcc
	v_lshlrev_b16_e32 v26, 8, v26
	v_or_b32_sdwa v25, v25, v26 dst_sel:DWORD dst_unused:UNUSED_PAD src0_sel:BYTE_0 src1_sel:DWORD
	v_lshrrev_b32_e32 v26, 24, v19
	v_cmp_ne_u32_e32 vcc, 3, v23
	v_cndmask_b32_e32 v26, 9, v26, vcc
	v_lshrrev_b32_e32 v27, 16, v19
	v_cmp_ne_u32_e32 vcc, 2, v23
	v_lshlrev_b16_e32 v26, 8, v26
	v_cndmask_b32_e32 v27, 9, v27, vcc
	v_or_b32_sdwa v26, v27, v26 dst_sel:WORD_1 dst_unused:UNUSED_PAD src0_sel:BYTE_0 src1_sel:DWORD
	v_cmp_ne_u32_e32 vcc, 20, v23
	v_or_b32_sdwa v25, v25, v26 dst_sel:DWORD dst_unused:UNUSED_PAD src0_sel:WORD_0 src1_sel:DWORD
	v_cndmask_b32_e32 v26, 9, v22, vcc
	v_lshrrev_b32_e32 v27, 8, v22
	v_cmp_ne_u32_e32 vcc, 21, v23
	v_cndmask_b32_e32 v27, 9, v27, vcc
	v_lshlrev_b16_e32 v27, 8, v27
	v_or_b32_sdwa v26, v26, v27 dst_sel:DWORD dst_unused:UNUSED_PAD src0_sel:BYTE_0 src1_sel:DWORD
	v_lshrrev_b32_e32 v27, 24, v22
	v_cmp_ne_u32_e32 vcc, 23, v23
	v_cndmask_b32_e32 v27, 9, v27, vcc
	v_lshrrev_b32_e32 v40, 16, v22
	v_cmp_ne_u32_e32 vcc, 22, v23
	v_lshlrev_b16_e32 v27, 8, v27
	v_cndmask_b32_e32 v40, 9, v40, vcc
	v_or_b32_sdwa v27, v40, v27 dst_sel:WORD_1 dst_unused:UNUSED_PAD src0_sel:BYTE_0 src1_sel:DWORD
	v_cmp_ne_u32_e32 vcc, 16, v23
	v_or_b32_sdwa v26, v26, v27 dst_sel:DWORD dst_unused:UNUSED_PAD src0_sel:WORD_0 src1_sel:DWORD
	;; [unrolled: 16-line block ×5, first 2 shown]
	v_cndmask_b32_e32 v42, 9, v20, vcc
	v_lshrrev_b32_e32 v43, 8, v20
	v_cmp_ne_u32_e32 vcc, 5, v23
	v_cndmask_b32_e32 v43, 9, v43, vcc
	v_lshlrev_b16_e32 v43, 8, v43
	v_or_b32_sdwa v42, v42, v43 dst_sel:DWORD dst_unused:UNUSED_PAD src0_sel:BYTE_0 src1_sel:DWORD
	v_lshrrev_b32_e32 v43, 24, v20
	v_cmp_ne_u32_e32 vcc, 7, v23
	v_cndmask_b32_e32 v43, 9, v43, vcc
	v_lshrrev_b32_e32 v44, 16, v20
	v_cmp_ne_u32_e32 vcc, 6, v23
	v_and_b32_e32 v24, 0x200, v16
	v_lshlrev_b16_e32 v43, 8, v43
	v_cndmask_b32_e32 v44, 9, v44, vcc
	v_or_b32_sdwa v43, v44, v43 dst_sel:WORD_1 dst_unused:UNUSED_PAD src0_sel:BYTE_0 src1_sel:DWORD
	v_cmp_eq_u32_e32 vcc, 0, v24
	v_bfe_u32 v24, v16, 9, 1
	v_or_b32_sdwa v42, v42, v43 dst_sel:DWORD dst_unused:UNUSED_PAD src0_sel:WORD_0 src1_sel:DWORD
	v_add_u32_e32 v23, v23, v24
	v_cndmask_b32_e32 v19, v25, v19, vcc
	v_cndmask_b32_e32 v20, v42, v20, vcc
	;; [unrolled: 1-line block ×6, first 2 shown]
	v_cmp_ne_u32_e32 vcc, 0, v23
	v_cndmask_b32_e32 v25, 10, v19, vcc
	v_lshrrev_b32_e32 v26, 8, v19
	v_cmp_ne_u32_e32 vcc, 1, v23
	v_cndmask_b32_e32 v26, 10, v26, vcc
	v_lshlrev_b16_e32 v26, 8, v26
	v_or_b32_sdwa v25, v25, v26 dst_sel:DWORD dst_unused:UNUSED_PAD src0_sel:BYTE_0 src1_sel:DWORD
	v_lshrrev_b32_e32 v26, 24, v19
	v_cmp_ne_u32_e32 vcc, 3, v23
	v_cndmask_b32_e32 v26, 10, v26, vcc
	v_lshrrev_b32_e32 v27, 16, v19
	v_cmp_ne_u32_e32 vcc, 2, v23
	v_lshlrev_b16_e32 v26, 8, v26
	v_cndmask_b32_e32 v27, 10, v27, vcc
	v_or_b32_sdwa v26, v27, v26 dst_sel:WORD_1 dst_unused:UNUSED_PAD src0_sel:BYTE_0 src1_sel:DWORD
	v_cmp_ne_u32_e32 vcc, 20, v23
	v_or_b32_sdwa v25, v25, v26 dst_sel:DWORD dst_unused:UNUSED_PAD src0_sel:WORD_0 src1_sel:DWORD
	v_cndmask_b32_e32 v26, 10, v22, vcc
	v_lshrrev_b32_e32 v27, 8, v22
	v_cmp_ne_u32_e32 vcc, 21, v23
	v_cndmask_b32_e32 v27, 10, v27, vcc
	v_lshlrev_b16_e32 v27, 8, v27
	v_or_b32_sdwa v26, v26, v27 dst_sel:DWORD dst_unused:UNUSED_PAD src0_sel:BYTE_0 src1_sel:DWORD
	v_lshrrev_b32_e32 v27, 24, v22
	v_cmp_ne_u32_e32 vcc, 23, v23
	v_cndmask_b32_e32 v27, 10, v27, vcc
	v_lshrrev_b32_e32 v40, 16, v22
	v_cmp_ne_u32_e32 vcc, 22, v23
	v_lshlrev_b16_e32 v27, 8, v27
	v_cndmask_b32_e32 v40, 10, v40, vcc
	v_or_b32_sdwa v27, v40, v27 dst_sel:WORD_1 dst_unused:UNUSED_PAD src0_sel:BYTE_0 src1_sel:DWORD
	v_cmp_ne_u32_e32 vcc, 16, v23
	v_or_b32_sdwa v26, v26, v27 dst_sel:DWORD dst_unused:UNUSED_PAD src0_sel:WORD_0 src1_sel:DWORD
	;; [unrolled: 16-line block ×5, first 2 shown]
	v_cndmask_b32_e32 v42, 10, v20, vcc
	v_lshrrev_b32_e32 v43, 8, v20
	v_cmp_ne_u32_e32 vcc, 5, v23
	v_cndmask_b32_e32 v43, 10, v43, vcc
	v_lshlrev_b16_e32 v43, 8, v43
	v_or_b32_sdwa v42, v42, v43 dst_sel:DWORD dst_unused:UNUSED_PAD src0_sel:BYTE_0 src1_sel:DWORD
	v_lshrrev_b32_e32 v43, 24, v20
	v_cmp_ne_u32_e32 vcc, 7, v23
	v_cndmask_b32_e32 v43, 10, v43, vcc
	v_lshrrev_b32_e32 v44, 16, v20
	v_cmp_ne_u32_e32 vcc, 6, v23
	v_and_b32_e32 v24, 0x400, v16
	v_lshlrev_b16_e32 v43, 8, v43
	v_cndmask_b32_e32 v44, 10, v44, vcc
	v_or_b32_sdwa v43, v44, v43 dst_sel:WORD_1 dst_unused:UNUSED_PAD src0_sel:BYTE_0 src1_sel:DWORD
	v_cmp_eq_u32_e32 vcc, 0, v24
	v_bfe_u32 v24, v16, 10, 1
	v_or_b32_sdwa v42, v42, v43 dst_sel:DWORD dst_unused:UNUSED_PAD src0_sel:WORD_0 src1_sel:DWORD
	v_add_u32_e32 v23, v23, v24
	v_cndmask_b32_e32 v19, v25, v19, vcc
	v_cndmask_b32_e32 v20, v42, v20, vcc
	;; [unrolled: 1-line block ×6, first 2 shown]
	v_cmp_ne_u32_e32 vcc, 0, v23
	v_cndmask_b32_e32 v25, 11, v19, vcc
	v_lshrrev_b32_e32 v26, 8, v19
	v_cmp_ne_u32_e32 vcc, 1, v23
	v_cndmask_b32_e32 v26, 11, v26, vcc
	v_lshlrev_b16_e32 v26, 8, v26
	v_or_b32_sdwa v25, v25, v26 dst_sel:DWORD dst_unused:UNUSED_PAD src0_sel:BYTE_0 src1_sel:DWORD
	v_lshrrev_b32_e32 v26, 24, v19
	v_cmp_ne_u32_e32 vcc, 3, v23
	v_cndmask_b32_e32 v26, 11, v26, vcc
	v_lshrrev_b32_e32 v27, 16, v19
	v_cmp_ne_u32_e32 vcc, 2, v23
	v_lshlrev_b16_e32 v26, 8, v26
	v_cndmask_b32_e32 v27, 11, v27, vcc
	v_or_b32_sdwa v26, v27, v26 dst_sel:WORD_1 dst_unused:UNUSED_PAD src0_sel:BYTE_0 src1_sel:DWORD
	v_cmp_ne_u32_e32 vcc, 20, v23
	v_or_b32_sdwa v25, v25, v26 dst_sel:DWORD dst_unused:UNUSED_PAD src0_sel:WORD_0 src1_sel:DWORD
	v_cndmask_b32_e32 v26, 11, v22, vcc
	v_lshrrev_b32_e32 v27, 8, v22
	v_cmp_ne_u32_e32 vcc, 21, v23
	v_cndmask_b32_e32 v27, 11, v27, vcc
	v_lshlrev_b16_e32 v27, 8, v27
	v_or_b32_sdwa v26, v26, v27 dst_sel:DWORD dst_unused:UNUSED_PAD src0_sel:BYTE_0 src1_sel:DWORD
	v_lshrrev_b32_e32 v27, 24, v22
	v_cmp_ne_u32_e32 vcc, 23, v23
	v_cndmask_b32_e32 v27, 11, v27, vcc
	v_lshrrev_b32_e32 v40, 16, v22
	v_cmp_ne_u32_e32 vcc, 22, v23
	v_lshlrev_b16_e32 v27, 8, v27
	v_cndmask_b32_e32 v40, 11, v40, vcc
	v_or_b32_sdwa v27, v40, v27 dst_sel:WORD_1 dst_unused:UNUSED_PAD src0_sel:BYTE_0 src1_sel:DWORD
	v_cmp_ne_u32_e32 vcc, 16, v23
	v_or_b32_sdwa v26, v26, v27 dst_sel:DWORD dst_unused:UNUSED_PAD src0_sel:WORD_0 src1_sel:DWORD
	;; [unrolled: 16-line block ×5, first 2 shown]
	v_cndmask_b32_e32 v42, 11, v20, vcc
	v_lshrrev_b32_e32 v43, 8, v20
	v_cmp_ne_u32_e32 vcc, 5, v23
	v_cndmask_b32_e32 v43, 11, v43, vcc
	v_lshlrev_b16_e32 v43, 8, v43
	v_or_b32_sdwa v42, v42, v43 dst_sel:DWORD dst_unused:UNUSED_PAD src0_sel:BYTE_0 src1_sel:DWORD
	v_lshrrev_b32_e32 v43, 24, v20
	v_cmp_ne_u32_e32 vcc, 7, v23
	v_cndmask_b32_e32 v43, 11, v43, vcc
	v_lshrrev_b32_e32 v44, 16, v20
	v_cmp_ne_u32_e32 vcc, 6, v23
	v_and_b32_e32 v24, 0x800, v16
	v_lshlrev_b16_e32 v43, 8, v43
	v_cndmask_b32_e32 v44, 11, v44, vcc
	v_or_b32_sdwa v43, v44, v43 dst_sel:WORD_1 dst_unused:UNUSED_PAD src0_sel:BYTE_0 src1_sel:DWORD
	v_cmp_eq_u32_e32 vcc, 0, v24
	v_bfe_u32 v24, v16, 11, 1
	v_or_b32_sdwa v42, v42, v43 dst_sel:DWORD dst_unused:UNUSED_PAD src0_sel:WORD_0 src1_sel:DWORD
	v_add_u32_e32 v23, v23, v24
	v_cndmask_b32_e32 v19, v25, v19, vcc
	v_cndmask_b32_e32 v20, v42, v20, vcc
	;; [unrolled: 1-line block ×6, first 2 shown]
	v_cmp_ne_u32_e32 vcc, 0, v23
	v_cndmask_b32_e32 v25, 12, v19, vcc
	v_lshrrev_b32_e32 v26, 8, v19
	v_cmp_ne_u32_e32 vcc, 1, v23
	v_cndmask_b32_e32 v26, 12, v26, vcc
	v_lshlrev_b16_e32 v26, 8, v26
	v_or_b32_sdwa v25, v25, v26 dst_sel:DWORD dst_unused:UNUSED_PAD src0_sel:BYTE_0 src1_sel:DWORD
	v_lshrrev_b32_e32 v26, 24, v19
	v_cmp_ne_u32_e32 vcc, 3, v23
	v_cndmask_b32_e32 v26, 12, v26, vcc
	v_lshrrev_b32_e32 v27, 16, v19
	v_cmp_ne_u32_e32 vcc, 2, v23
	v_lshlrev_b16_e32 v26, 8, v26
	v_cndmask_b32_e32 v27, 12, v27, vcc
	v_or_b32_sdwa v26, v27, v26 dst_sel:WORD_1 dst_unused:UNUSED_PAD src0_sel:BYTE_0 src1_sel:DWORD
	v_cmp_ne_u32_e32 vcc, 20, v23
	v_or_b32_sdwa v25, v25, v26 dst_sel:DWORD dst_unused:UNUSED_PAD src0_sel:WORD_0 src1_sel:DWORD
	v_cndmask_b32_e32 v26, 12, v22, vcc
	v_lshrrev_b32_e32 v27, 8, v22
	v_cmp_ne_u32_e32 vcc, 21, v23
	v_cndmask_b32_e32 v27, 12, v27, vcc
	v_lshlrev_b16_e32 v27, 8, v27
	v_or_b32_sdwa v26, v26, v27 dst_sel:DWORD dst_unused:UNUSED_PAD src0_sel:BYTE_0 src1_sel:DWORD
	v_lshrrev_b32_e32 v27, 24, v22
	v_cmp_ne_u32_e32 vcc, 23, v23
	v_cndmask_b32_e32 v27, 12, v27, vcc
	v_lshrrev_b32_e32 v40, 16, v22
	v_cmp_ne_u32_e32 vcc, 22, v23
	v_lshlrev_b16_e32 v27, 8, v27
	v_cndmask_b32_e32 v40, 12, v40, vcc
	v_or_b32_sdwa v27, v40, v27 dst_sel:WORD_1 dst_unused:UNUSED_PAD src0_sel:BYTE_0 src1_sel:DWORD
	v_cmp_ne_u32_e32 vcc, 16, v23
	v_or_b32_sdwa v26, v26, v27 dst_sel:DWORD dst_unused:UNUSED_PAD src0_sel:WORD_0 src1_sel:DWORD
	;; [unrolled: 16-line block ×5, first 2 shown]
	v_cndmask_b32_e32 v42, 12, v20, vcc
	v_lshrrev_b32_e32 v43, 8, v20
	v_cmp_ne_u32_e32 vcc, 5, v23
	v_cndmask_b32_e32 v43, 12, v43, vcc
	v_lshlrev_b16_e32 v43, 8, v43
	v_or_b32_sdwa v42, v42, v43 dst_sel:DWORD dst_unused:UNUSED_PAD src0_sel:BYTE_0 src1_sel:DWORD
	v_lshrrev_b32_e32 v43, 24, v20
	v_cmp_ne_u32_e32 vcc, 7, v23
	v_cndmask_b32_e32 v43, 12, v43, vcc
	v_lshrrev_b32_e32 v44, 16, v20
	v_cmp_ne_u32_e32 vcc, 6, v23
	v_and_b32_e32 v24, 0x1000, v16
	v_lshlrev_b16_e32 v43, 8, v43
	v_cndmask_b32_e32 v44, 12, v44, vcc
	v_or_b32_sdwa v43, v44, v43 dst_sel:WORD_1 dst_unused:UNUSED_PAD src0_sel:BYTE_0 src1_sel:DWORD
	v_cmp_eq_u32_e32 vcc, 0, v24
	v_bfe_u32 v24, v16, 12, 1
	v_or_b32_sdwa v42, v42, v43 dst_sel:DWORD dst_unused:UNUSED_PAD src0_sel:WORD_0 src1_sel:DWORD
	v_add_u32_e32 v23, v23, v24
	v_cndmask_b32_e32 v19, v25, v19, vcc
	v_cndmask_b32_e32 v20, v42, v20, vcc
	;; [unrolled: 1-line block ×6, first 2 shown]
	v_cmp_ne_u32_e32 vcc, 0, v23
	v_cndmask_b32_e32 v25, 13, v19, vcc
	v_lshrrev_b32_e32 v26, 8, v19
	v_cmp_ne_u32_e32 vcc, 1, v23
	v_cndmask_b32_e32 v26, 13, v26, vcc
	v_lshlrev_b16_e32 v26, 8, v26
	v_or_b32_sdwa v25, v25, v26 dst_sel:DWORD dst_unused:UNUSED_PAD src0_sel:BYTE_0 src1_sel:DWORD
	v_lshrrev_b32_e32 v26, 24, v19
	v_cmp_ne_u32_e32 vcc, 3, v23
	v_cndmask_b32_e32 v26, 13, v26, vcc
	v_lshrrev_b32_e32 v27, 16, v19
	v_cmp_ne_u32_e32 vcc, 2, v23
	v_lshlrev_b16_e32 v26, 8, v26
	v_cndmask_b32_e32 v27, 13, v27, vcc
	v_or_b32_sdwa v26, v27, v26 dst_sel:WORD_1 dst_unused:UNUSED_PAD src0_sel:BYTE_0 src1_sel:DWORD
	v_cmp_ne_u32_e32 vcc, 20, v23
	v_or_b32_sdwa v25, v25, v26 dst_sel:DWORD dst_unused:UNUSED_PAD src0_sel:WORD_0 src1_sel:DWORD
	v_cndmask_b32_e32 v26, 13, v22, vcc
	v_lshrrev_b32_e32 v27, 8, v22
	v_cmp_ne_u32_e32 vcc, 21, v23
	v_cndmask_b32_e32 v27, 13, v27, vcc
	v_lshlrev_b16_e32 v27, 8, v27
	v_or_b32_sdwa v26, v26, v27 dst_sel:DWORD dst_unused:UNUSED_PAD src0_sel:BYTE_0 src1_sel:DWORD
	v_lshrrev_b32_e32 v27, 24, v22
	v_cmp_ne_u32_e32 vcc, 23, v23
	v_cndmask_b32_e32 v27, 13, v27, vcc
	v_lshrrev_b32_e32 v40, 16, v22
	v_cmp_ne_u32_e32 vcc, 22, v23
	v_lshlrev_b16_e32 v27, 8, v27
	v_cndmask_b32_e32 v40, 13, v40, vcc
	v_or_b32_sdwa v27, v40, v27 dst_sel:WORD_1 dst_unused:UNUSED_PAD src0_sel:BYTE_0 src1_sel:DWORD
	v_cmp_ne_u32_e32 vcc, 16, v23
	v_or_b32_sdwa v26, v26, v27 dst_sel:DWORD dst_unused:UNUSED_PAD src0_sel:WORD_0 src1_sel:DWORD
	;; [unrolled: 16-line block ×5, first 2 shown]
	v_cndmask_b32_e32 v42, 13, v20, vcc
	v_lshrrev_b32_e32 v43, 8, v20
	v_cmp_ne_u32_e32 vcc, 5, v23
	v_cndmask_b32_e32 v43, 13, v43, vcc
	v_lshlrev_b16_e32 v43, 8, v43
	v_or_b32_sdwa v42, v42, v43 dst_sel:DWORD dst_unused:UNUSED_PAD src0_sel:BYTE_0 src1_sel:DWORD
	v_lshrrev_b32_e32 v43, 24, v20
	v_cmp_ne_u32_e32 vcc, 7, v23
	v_cndmask_b32_e32 v43, 13, v43, vcc
	v_lshrrev_b32_e32 v44, 16, v20
	v_cmp_ne_u32_e32 vcc, 6, v23
	v_and_b32_e32 v24, 0x2000, v16
	v_lshlrev_b16_e32 v43, 8, v43
	v_cndmask_b32_e32 v44, 13, v44, vcc
	v_or_b32_sdwa v43, v44, v43 dst_sel:WORD_1 dst_unused:UNUSED_PAD src0_sel:BYTE_0 src1_sel:DWORD
	v_cmp_eq_u32_e32 vcc, 0, v24
	v_bfe_u32 v24, v16, 13, 1
	v_or_b32_sdwa v42, v42, v43 dst_sel:DWORD dst_unused:UNUSED_PAD src0_sel:WORD_0 src1_sel:DWORD
	v_add_u32_e32 v23, v23, v24
	v_cndmask_b32_e32 v19, v25, v19, vcc
	v_cndmask_b32_e32 v20, v42, v20, vcc
	v_cndmask_b32_e32 v18, v41, v18, vcc
	v_cndmask_b32_e32 v21, v40, v21, vcc
	v_cndmask_b32_e32 v17, v27, v17, vcc
	v_cndmask_b32_e32 v22, v26, v22, vcc
	v_cmp_ne_u32_e32 vcc, 0, v23
	v_cndmask_b32_e32 v25, 14, v19, vcc
	v_lshrrev_b32_e32 v26, 8, v19
	v_cmp_ne_u32_e32 vcc, 1, v23
	v_cndmask_b32_e32 v26, 14, v26, vcc
	v_lshlrev_b16_e32 v26, 8, v26
	v_or_b32_sdwa v25, v25, v26 dst_sel:DWORD dst_unused:UNUSED_PAD src0_sel:BYTE_0 src1_sel:DWORD
	v_lshrrev_b32_e32 v26, 24, v19
	v_cmp_ne_u32_e32 vcc, 3, v23
	v_cndmask_b32_e32 v26, 14, v26, vcc
	v_lshrrev_b32_e32 v27, 16, v19
	v_cmp_ne_u32_e32 vcc, 2, v23
	v_lshlrev_b16_e32 v26, 8, v26
	v_cndmask_b32_e32 v27, 14, v27, vcc
	v_or_b32_sdwa v26, v27, v26 dst_sel:WORD_1 dst_unused:UNUSED_PAD src0_sel:BYTE_0 src1_sel:DWORD
	v_cmp_ne_u32_e32 vcc, 20, v23
	v_or_b32_sdwa v25, v25, v26 dst_sel:DWORD dst_unused:UNUSED_PAD src0_sel:WORD_0 src1_sel:DWORD
	v_cndmask_b32_e32 v26, 14, v22, vcc
	v_lshrrev_b32_e32 v27, 8, v22
	v_cmp_ne_u32_e32 vcc, 21, v23
	v_cndmask_b32_e32 v27, 14, v27, vcc
	v_lshlrev_b16_e32 v27, 8, v27
	v_or_b32_sdwa v26, v26, v27 dst_sel:DWORD dst_unused:UNUSED_PAD src0_sel:BYTE_0 src1_sel:DWORD
	v_lshrrev_b32_e32 v27, 24, v22
	v_cmp_ne_u32_e32 vcc, 23, v23
	v_cndmask_b32_e32 v27, 14, v27, vcc
	v_lshrrev_b32_e32 v40, 16, v22
	v_cmp_ne_u32_e32 vcc, 22, v23
	v_lshlrev_b16_e32 v27, 8, v27
	v_cndmask_b32_e32 v40, 14, v40, vcc
	v_or_b32_sdwa v27, v40, v27 dst_sel:WORD_1 dst_unused:UNUSED_PAD src0_sel:BYTE_0 src1_sel:DWORD
	v_cmp_ne_u32_e32 vcc, 16, v23
	v_or_b32_sdwa v26, v26, v27 dst_sel:DWORD dst_unused:UNUSED_PAD src0_sel:WORD_0 src1_sel:DWORD
	;; [unrolled: 16-line block ×5, first 2 shown]
	v_cndmask_b32_e32 v42, 14, v20, vcc
	v_lshrrev_b32_e32 v43, 8, v20
	v_cmp_ne_u32_e32 vcc, 5, v23
	v_cndmask_b32_e32 v43, 14, v43, vcc
	v_lshlrev_b16_e32 v43, 8, v43
	v_or_b32_sdwa v42, v42, v43 dst_sel:DWORD dst_unused:UNUSED_PAD src0_sel:BYTE_0 src1_sel:DWORD
	v_lshrrev_b32_e32 v43, 24, v20
	v_cmp_ne_u32_e32 vcc, 7, v23
	v_cndmask_b32_e32 v43, 14, v43, vcc
	v_lshrrev_b32_e32 v44, 16, v20
	v_cmp_ne_u32_e32 vcc, 6, v23
	v_and_b32_e32 v24, 0x4000, v16
	v_lshlrev_b16_e32 v43, 8, v43
	v_cndmask_b32_e32 v44, 14, v44, vcc
	v_or_b32_sdwa v43, v44, v43 dst_sel:WORD_1 dst_unused:UNUSED_PAD src0_sel:BYTE_0 src1_sel:DWORD
	v_cmp_eq_u32_e32 vcc, 0, v24
	v_bfe_u32 v24, v16, 14, 1
	v_or_b32_sdwa v42, v42, v43 dst_sel:DWORD dst_unused:UNUSED_PAD src0_sel:WORD_0 src1_sel:DWORD
	v_add_u32_e32 v23, v23, v24
	v_cndmask_b32_e32 v19, v25, v19, vcc
	v_cndmask_b32_e32 v20, v42, v20, vcc
	;; [unrolled: 1-line block ×6, first 2 shown]
	v_cmp_ne_u32_e32 vcc, 0, v23
	v_cndmask_b32_e32 v25, 15, v19, vcc
	v_lshrrev_b32_e32 v26, 8, v19
	v_cmp_ne_u32_e32 vcc, 1, v23
	v_cndmask_b32_e32 v26, 15, v26, vcc
	v_lshlrev_b16_e32 v26, 8, v26
	v_or_b32_sdwa v25, v25, v26 dst_sel:DWORD dst_unused:UNUSED_PAD src0_sel:BYTE_0 src1_sel:DWORD
	v_lshrrev_b32_e32 v26, 24, v19
	v_cmp_ne_u32_e32 vcc, 3, v23
	v_cndmask_b32_e32 v26, 15, v26, vcc
	v_lshrrev_b32_e32 v27, 16, v19
	v_cmp_ne_u32_e32 vcc, 2, v23
	v_lshlrev_b16_e32 v26, 8, v26
	v_cndmask_b32_e32 v27, 15, v27, vcc
	v_or_b32_sdwa v26, v27, v26 dst_sel:WORD_1 dst_unused:UNUSED_PAD src0_sel:BYTE_0 src1_sel:DWORD
	v_cmp_ne_u32_e32 vcc, 20, v23
	v_or_b32_sdwa v25, v25, v26 dst_sel:DWORD dst_unused:UNUSED_PAD src0_sel:WORD_0 src1_sel:DWORD
	v_cndmask_b32_e32 v26, 15, v22, vcc
	v_lshrrev_b32_e32 v27, 8, v22
	v_cmp_ne_u32_e32 vcc, 21, v23
	v_cndmask_b32_e32 v27, 15, v27, vcc
	v_lshlrev_b16_e32 v27, 8, v27
	v_or_b32_sdwa v26, v26, v27 dst_sel:DWORD dst_unused:UNUSED_PAD src0_sel:BYTE_0 src1_sel:DWORD
	v_lshrrev_b32_e32 v27, 24, v22
	v_cmp_ne_u32_e32 vcc, 23, v23
	v_cndmask_b32_e32 v27, 15, v27, vcc
	v_lshrrev_b32_e32 v40, 16, v22
	v_cmp_ne_u32_e32 vcc, 22, v23
	v_lshlrev_b16_e32 v27, 8, v27
	v_cndmask_b32_e32 v40, 15, v40, vcc
	v_or_b32_sdwa v27, v40, v27 dst_sel:WORD_1 dst_unused:UNUSED_PAD src0_sel:BYTE_0 src1_sel:DWORD
	v_cmp_ne_u32_e32 vcc, 16, v23
	v_or_b32_sdwa v26, v26, v27 dst_sel:DWORD dst_unused:UNUSED_PAD src0_sel:WORD_0 src1_sel:DWORD
	;; [unrolled: 16-line block ×5, first 2 shown]
	v_cndmask_b32_e32 v42, 15, v20, vcc
	v_lshrrev_b32_e32 v43, 8, v20
	v_cmp_ne_u32_e32 vcc, 5, v23
	v_cndmask_b32_e32 v43, 15, v43, vcc
	v_lshlrev_b16_e32 v43, 8, v43
	v_or_b32_sdwa v42, v42, v43 dst_sel:DWORD dst_unused:UNUSED_PAD src0_sel:BYTE_0 src1_sel:DWORD
	v_lshrrev_b32_e32 v43, 24, v20
	v_cmp_ne_u32_e32 vcc, 7, v23
	v_cndmask_b32_e32 v43, 15, v43, vcc
	v_lshrrev_b32_e32 v44, 16, v20
	v_cmp_ne_u32_e32 vcc, 6, v23
	v_and_b32_e32 v24, 0x8000, v16
	v_lshlrev_b16_e32 v43, 8, v43
	v_cndmask_b32_e32 v44, 15, v44, vcc
	v_or_b32_sdwa v43, v44, v43 dst_sel:WORD_1 dst_unused:UNUSED_PAD src0_sel:BYTE_0 src1_sel:DWORD
	v_cmp_eq_u32_e32 vcc, 0, v24
	v_bfe_u32 v24, v16, 15, 1
	v_or_b32_sdwa v42, v42, v43 dst_sel:DWORD dst_unused:UNUSED_PAD src0_sel:WORD_0 src1_sel:DWORD
	v_add_u32_e32 v23, v23, v24
	v_cndmask_b32_e32 v19, v25, v19, vcc
	v_cndmask_b32_e32 v20, v42, v20, vcc
	;; [unrolled: 1-line block ×6, first 2 shown]
	v_cmp_ne_u32_e32 vcc, 0, v23
	v_cndmask_b32_e32 v25, 16, v19, vcc
	v_lshrrev_b32_e32 v26, 8, v19
	v_cmp_ne_u32_e32 vcc, 1, v23
	v_cndmask_b32_e32 v26, 16, v26, vcc
	v_lshlrev_b16_e32 v26, 8, v26
	v_or_b32_sdwa v25, v25, v26 dst_sel:DWORD dst_unused:UNUSED_PAD src0_sel:BYTE_0 src1_sel:DWORD
	v_lshrrev_b32_e32 v26, 24, v19
	v_cmp_ne_u32_e32 vcc, 3, v23
	v_cndmask_b32_e32 v26, 16, v26, vcc
	v_lshrrev_b32_e32 v27, 16, v19
	v_cmp_ne_u32_e32 vcc, 2, v23
	v_lshlrev_b16_e32 v26, 8, v26
	v_cndmask_b32_e32 v27, 16, v27, vcc
	v_or_b32_sdwa v26, v27, v26 dst_sel:WORD_1 dst_unused:UNUSED_PAD src0_sel:BYTE_0 src1_sel:DWORD
	v_cmp_ne_u32_e32 vcc, 20, v23
	v_or_b32_sdwa v25, v25, v26 dst_sel:DWORD dst_unused:UNUSED_PAD src0_sel:WORD_0 src1_sel:DWORD
	v_cndmask_b32_e32 v26, 16, v22, vcc
	v_lshrrev_b32_e32 v27, 8, v22
	v_cmp_ne_u32_e32 vcc, 21, v23
	v_cndmask_b32_e32 v27, 16, v27, vcc
	v_lshlrev_b16_e32 v27, 8, v27
	v_or_b32_sdwa v26, v26, v27 dst_sel:DWORD dst_unused:UNUSED_PAD src0_sel:BYTE_0 src1_sel:DWORD
	v_lshrrev_b32_e32 v27, 24, v22
	v_cmp_ne_u32_e32 vcc, 23, v23
	v_cndmask_b32_e32 v27, 16, v27, vcc
	v_lshrrev_b32_e32 v40, 16, v22
	v_cmp_ne_u32_e32 vcc, 22, v23
	v_lshlrev_b16_e32 v27, 8, v27
	v_cndmask_b32_e32 v40, 16, v40, vcc
	v_or_b32_sdwa v27, v40, v27 dst_sel:WORD_1 dst_unused:UNUSED_PAD src0_sel:BYTE_0 src1_sel:DWORD
	v_cmp_ne_u32_e32 vcc, 16, v23
	v_or_b32_sdwa v26, v26, v27 dst_sel:DWORD dst_unused:UNUSED_PAD src0_sel:WORD_0 src1_sel:DWORD
	;; [unrolled: 16-line block ×5, first 2 shown]
	v_cndmask_b32_e32 v42, 16, v20, vcc
	v_lshrrev_b32_e32 v43, 8, v20
	v_cmp_ne_u32_e32 vcc, 5, v23
	v_cndmask_b32_e32 v43, 16, v43, vcc
	v_lshlrev_b16_e32 v43, 8, v43
	v_or_b32_sdwa v42, v42, v43 dst_sel:DWORD dst_unused:UNUSED_PAD src0_sel:BYTE_0 src1_sel:DWORD
	v_lshrrev_b32_e32 v43, 24, v20
	v_cmp_ne_u32_e32 vcc, 7, v23
	v_cndmask_b32_e32 v43, 16, v43, vcc
	v_lshrrev_b32_e32 v44, 16, v20
	v_cmp_ne_u32_e32 vcc, 6, v23
	v_and_b32_e32 v24, 0x10000, v16
	v_lshlrev_b16_e32 v43, 8, v43
	v_cndmask_b32_e32 v44, 16, v44, vcc
	v_or_b32_sdwa v43, v44, v43 dst_sel:WORD_1 dst_unused:UNUSED_PAD src0_sel:BYTE_0 src1_sel:DWORD
	v_cmp_eq_u32_e32 vcc, 0, v24
	v_bfe_u32 v24, v16, 16, 1
	v_or_b32_sdwa v42, v42, v43 dst_sel:DWORD dst_unused:UNUSED_PAD src0_sel:WORD_0 src1_sel:DWORD
	v_add_u32_e32 v23, v23, v24
	v_cndmask_b32_e32 v19, v25, v19, vcc
	v_cndmask_b32_e32 v20, v42, v20, vcc
	;; [unrolled: 1-line block ×6, first 2 shown]
	v_cmp_ne_u32_e32 vcc, 0, v23
	v_cndmask_b32_e32 v25, 17, v19, vcc
	v_lshrrev_b32_e32 v26, 8, v19
	v_cmp_ne_u32_e32 vcc, 1, v23
	v_cndmask_b32_e32 v26, 17, v26, vcc
	v_lshlrev_b16_e32 v26, 8, v26
	v_or_b32_sdwa v25, v25, v26 dst_sel:DWORD dst_unused:UNUSED_PAD src0_sel:BYTE_0 src1_sel:DWORD
	v_lshrrev_b32_e32 v26, 24, v19
	v_cmp_ne_u32_e32 vcc, 3, v23
	v_cndmask_b32_e32 v26, 17, v26, vcc
	v_lshrrev_b32_e32 v27, 16, v19
	v_cmp_ne_u32_e32 vcc, 2, v23
	v_lshlrev_b16_e32 v26, 8, v26
	v_cndmask_b32_e32 v27, 17, v27, vcc
	v_or_b32_sdwa v26, v27, v26 dst_sel:WORD_1 dst_unused:UNUSED_PAD src0_sel:BYTE_0 src1_sel:DWORD
	v_cmp_ne_u32_e32 vcc, 20, v23
	v_or_b32_sdwa v25, v25, v26 dst_sel:DWORD dst_unused:UNUSED_PAD src0_sel:WORD_0 src1_sel:DWORD
	v_cndmask_b32_e32 v26, 17, v22, vcc
	v_lshrrev_b32_e32 v27, 8, v22
	v_cmp_ne_u32_e32 vcc, 21, v23
	v_cndmask_b32_e32 v27, 17, v27, vcc
	v_lshlrev_b16_e32 v27, 8, v27
	v_or_b32_sdwa v26, v26, v27 dst_sel:DWORD dst_unused:UNUSED_PAD src0_sel:BYTE_0 src1_sel:DWORD
	v_lshrrev_b32_e32 v27, 24, v22
	v_cmp_ne_u32_e32 vcc, 23, v23
	v_cndmask_b32_e32 v27, 17, v27, vcc
	v_lshrrev_b32_e32 v40, 16, v22
	v_cmp_ne_u32_e32 vcc, 22, v23
	v_lshlrev_b16_e32 v27, 8, v27
	v_cndmask_b32_e32 v40, 17, v40, vcc
	v_or_b32_sdwa v27, v40, v27 dst_sel:WORD_1 dst_unused:UNUSED_PAD src0_sel:BYTE_0 src1_sel:DWORD
	v_cmp_ne_u32_e32 vcc, 16, v23
	v_or_b32_sdwa v26, v26, v27 dst_sel:DWORD dst_unused:UNUSED_PAD src0_sel:WORD_0 src1_sel:DWORD
	;; [unrolled: 16-line block ×5, first 2 shown]
	v_cndmask_b32_e32 v42, 17, v20, vcc
	v_lshrrev_b32_e32 v43, 8, v20
	v_cmp_ne_u32_e32 vcc, 5, v23
	v_cndmask_b32_e32 v43, 17, v43, vcc
	v_lshlrev_b16_e32 v43, 8, v43
	v_or_b32_sdwa v42, v42, v43 dst_sel:DWORD dst_unused:UNUSED_PAD src0_sel:BYTE_0 src1_sel:DWORD
	v_lshrrev_b32_e32 v43, 24, v20
	v_cmp_ne_u32_e32 vcc, 7, v23
	v_cndmask_b32_e32 v43, 17, v43, vcc
	v_lshrrev_b32_e32 v44, 16, v20
	v_cmp_ne_u32_e32 vcc, 6, v23
	v_and_b32_e32 v24, 0x20000, v16
	v_lshlrev_b16_e32 v43, 8, v43
	v_cndmask_b32_e32 v44, 17, v44, vcc
	v_or_b32_sdwa v43, v44, v43 dst_sel:WORD_1 dst_unused:UNUSED_PAD src0_sel:BYTE_0 src1_sel:DWORD
	v_cmp_eq_u32_e32 vcc, 0, v24
	v_bfe_u32 v24, v16, 17, 1
	v_or_b32_sdwa v42, v42, v43 dst_sel:DWORD dst_unused:UNUSED_PAD src0_sel:WORD_0 src1_sel:DWORD
	v_add_u32_e32 v23, v23, v24
	v_cndmask_b32_e32 v19, v25, v19, vcc
	v_cndmask_b32_e32 v20, v42, v20, vcc
	v_cndmask_b32_e32 v18, v41, v18, vcc
	v_cndmask_b32_e32 v21, v40, v21, vcc
	v_cndmask_b32_e32 v17, v27, v17, vcc
	v_cndmask_b32_e32 v22, v26, v22, vcc
	v_cmp_ne_u32_e32 vcc, 0, v23
	v_cndmask_b32_e32 v25, 18, v19, vcc
	v_lshrrev_b32_e32 v26, 8, v19
	v_cmp_ne_u32_e32 vcc, 1, v23
	v_cndmask_b32_e32 v26, 18, v26, vcc
	v_lshlrev_b16_e32 v26, 8, v26
	v_or_b32_sdwa v25, v25, v26 dst_sel:DWORD dst_unused:UNUSED_PAD src0_sel:BYTE_0 src1_sel:DWORD
	v_lshrrev_b32_e32 v26, 24, v19
	v_cmp_ne_u32_e32 vcc, 3, v23
	v_cndmask_b32_e32 v26, 18, v26, vcc
	v_lshrrev_b32_e32 v27, 16, v19
	v_cmp_ne_u32_e32 vcc, 2, v23
	v_lshlrev_b16_e32 v26, 8, v26
	v_cndmask_b32_e32 v27, 18, v27, vcc
	v_or_b32_sdwa v26, v27, v26 dst_sel:WORD_1 dst_unused:UNUSED_PAD src0_sel:BYTE_0 src1_sel:DWORD
	v_cmp_ne_u32_e32 vcc, 20, v23
	v_or_b32_sdwa v25, v25, v26 dst_sel:DWORD dst_unused:UNUSED_PAD src0_sel:WORD_0 src1_sel:DWORD
	v_cndmask_b32_e32 v26, 18, v22, vcc
	v_lshrrev_b32_e32 v27, 8, v22
	v_cmp_ne_u32_e32 vcc, 21, v23
	v_cndmask_b32_e32 v27, 18, v27, vcc
	v_lshlrev_b16_e32 v27, 8, v27
	v_or_b32_sdwa v26, v26, v27 dst_sel:DWORD dst_unused:UNUSED_PAD src0_sel:BYTE_0 src1_sel:DWORD
	v_lshrrev_b32_e32 v27, 24, v22
	v_cmp_ne_u32_e32 vcc, 23, v23
	v_cndmask_b32_e32 v27, 18, v27, vcc
	v_lshrrev_b32_e32 v40, 16, v22
	v_cmp_ne_u32_e32 vcc, 22, v23
	v_lshlrev_b16_e32 v27, 8, v27
	v_cndmask_b32_e32 v40, 18, v40, vcc
	v_or_b32_sdwa v27, v40, v27 dst_sel:WORD_1 dst_unused:UNUSED_PAD src0_sel:BYTE_0 src1_sel:DWORD
	v_cmp_ne_u32_e32 vcc, 16, v23
	v_or_b32_sdwa v26, v26, v27 dst_sel:DWORD dst_unused:UNUSED_PAD src0_sel:WORD_0 src1_sel:DWORD
	;; [unrolled: 16-line block ×5, first 2 shown]
	v_cndmask_b32_e32 v42, 18, v20, vcc
	v_lshrrev_b32_e32 v43, 8, v20
	v_cmp_ne_u32_e32 vcc, 5, v23
	v_cndmask_b32_e32 v43, 18, v43, vcc
	v_lshlrev_b16_e32 v43, 8, v43
	v_or_b32_sdwa v42, v42, v43 dst_sel:DWORD dst_unused:UNUSED_PAD src0_sel:BYTE_0 src1_sel:DWORD
	v_lshrrev_b32_e32 v43, 24, v20
	v_cmp_ne_u32_e32 vcc, 7, v23
	v_cndmask_b32_e32 v43, 18, v43, vcc
	v_lshrrev_b32_e32 v44, 16, v20
	v_cmp_ne_u32_e32 vcc, 6, v23
	v_and_b32_e32 v24, 0x40000, v16
	v_lshlrev_b16_e32 v43, 8, v43
	v_cndmask_b32_e32 v44, 18, v44, vcc
	v_or_b32_sdwa v43, v44, v43 dst_sel:WORD_1 dst_unused:UNUSED_PAD src0_sel:BYTE_0 src1_sel:DWORD
	v_cmp_eq_u32_e32 vcc, 0, v24
	v_bfe_u32 v24, v16, 18, 1
	v_or_b32_sdwa v42, v42, v43 dst_sel:DWORD dst_unused:UNUSED_PAD src0_sel:WORD_0 src1_sel:DWORD
	v_add_u32_e32 v23, v23, v24
	v_cndmask_b32_e32 v19, v25, v19, vcc
	v_cndmask_b32_e32 v20, v42, v20, vcc
	;; [unrolled: 1-line block ×6, first 2 shown]
	v_cmp_ne_u32_e32 vcc, 0, v23
	v_cndmask_b32_e32 v25, 19, v19, vcc
	v_lshrrev_b32_e32 v26, 8, v19
	v_cmp_ne_u32_e32 vcc, 1, v23
	v_cndmask_b32_e32 v26, 19, v26, vcc
	v_lshlrev_b16_e32 v26, 8, v26
	v_or_b32_sdwa v25, v25, v26 dst_sel:DWORD dst_unused:UNUSED_PAD src0_sel:BYTE_0 src1_sel:DWORD
	v_lshrrev_b32_e32 v26, 24, v19
	v_cmp_ne_u32_e32 vcc, 3, v23
	v_cndmask_b32_e32 v26, 19, v26, vcc
	v_lshrrev_b32_e32 v27, 16, v19
	v_cmp_ne_u32_e32 vcc, 2, v23
	v_lshlrev_b16_e32 v26, 8, v26
	v_cndmask_b32_e32 v27, 19, v27, vcc
	v_or_b32_sdwa v26, v27, v26 dst_sel:WORD_1 dst_unused:UNUSED_PAD src0_sel:BYTE_0 src1_sel:DWORD
	v_cmp_ne_u32_e32 vcc, 20, v23
	v_or_b32_sdwa v25, v25, v26 dst_sel:DWORD dst_unused:UNUSED_PAD src0_sel:WORD_0 src1_sel:DWORD
	v_cndmask_b32_e32 v26, 19, v22, vcc
	v_lshrrev_b32_e32 v27, 8, v22
	v_cmp_ne_u32_e32 vcc, 21, v23
	v_cndmask_b32_e32 v27, 19, v27, vcc
	v_lshlrev_b16_e32 v27, 8, v27
	v_or_b32_sdwa v26, v26, v27 dst_sel:DWORD dst_unused:UNUSED_PAD src0_sel:BYTE_0 src1_sel:DWORD
	v_lshrrev_b32_e32 v27, 24, v22
	v_cmp_ne_u32_e32 vcc, 23, v23
	v_cndmask_b32_e32 v27, 19, v27, vcc
	v_lshrrev_b32_e32 v40, 16, v22
	v_cmp_ne_u32_e32 vcc, 22, v23
	v_lshlrev_b16_e32 v27, 8, v27
	v_cndmask_b32_e32 v40, 19, v40, vcc
	v_or_b32_sdwa v27, v40, v27 dst_sel:WORD_1 dst_unused:UNUSED_PAD src0_sel:BYTE_0 src1_sel:DWORD
	v_cmp_ne_u32_e32 vcc, 16, v23
	v_or_b32_sdwa v26, v26, v27 dst_sel:DWORD dst_unused:UNUSED_PAD src0_sel:WORD_0 src1_sel:DWORD
	;; [unrolled: 16-line block ×5, first 2 shown]
	v_cndmask_b32_e32 v42, 19, v20, vcc
	v_lshrrev_b32_e32 v43, 8, v20
	v_cmp_ne_u32_e32 vcc, 5, v23
	v_cndmask_b32_e32 v43, 19, v43, vcc
	v_lshlrev_b16_e32 v43, 8, v43
	v_or_b32_sdwa v42, v42, v43 dst_sel:DWORD dst_unused:UNUSED_PAD src0_sel:BYTE_0 src1_sel:DWORD
	v_lshrrev_b32_e32 v43, 24, v20
	v_cmp_ne_u32_e32 vcc, 7, v23
	v_cndmask_b32_e32 v43, 19, v43, vcc
	v_lshrrev_b32_e32 v44, 16, v20
	v_cmp_ne_u32_e32 vcc, 6, v23
	v_and_b32_e32 v24, 0x80000, v16
	v_lshlrev_b16_e32 v43, 8, v43
	v_cndmask_b32_e32 v44, 19, v44, vcc
	v_or_b32_sdwa v43, v44, v43 dst_sel:WORD_1 dst_unused:UNUSED_PAD src0_sel:BYTE_0 src1_sel:DWORD
	v_cmp_eq_u32_e32 vcc, 0, v24
	v_bfe_u32 v24, v16, 19, 1
	v_or_b32_sdwa v42, v42, v43 dst_sel:DWORD dst_unused:UNUSED_PAD src0_sel:WORD_0 src1_sel:DWORD
	v_add_u32_e32 v23, v23, v24
	v_cndmask_b32_e32 v19, v25, v19, vcc
	v_cndmask_b32_e32 v20, v42, v20, vcc
	;; [unrolled: 1-line block ×6, first 2 shown]
	v_cmp_ne_u32_e32 vcc, 0, v23
	v_cndmask_b32_e32 v25, 20, v19, vcc
	v_lshrrev_b32_e32 v26, 8, v19
	v_cmp_ne_u32_e32 vcc, 1, v23
	v_cndmask_b32_e32 v26, 20, v26, vcc
	v_lshlrev_b16_e32 v26, 8, v26
	v_or_b32_sdwa v25, v25, v26 dst_sel:DWORD dst_unused:UNUSED_PAD src0_sel:BYTE_0 src1_sel:DWORD
	v_lshrrev_b32_e32 v26, 24, v19
	v_cmp_ne_u32_e32 vcc, 3, v23
	v_cndmask_b32_e32 v26, 20, v26, vcc
	v_lshrrev_b32_e32 v27, 16, v19
	v_cmp_ne_u32_e32 vcc, 2, v23
	v_lshlrev_b16_e32 v26, 8, v26
	v_cndmask_b32_e32 v27, 20, v27, vcc
	v_or_b32_sdwa v26, v27, v26 dst_sel:WORD_1 dst_unused:UNUSED_PAD src0_sel:BYTE_0 src1_sel:DWORD
	v_cmp_ne_u32_e32 vcc, 20, v23
	v_or_b32_sdwa v25, v25, v26 dst_sel:DWORD dst_unused:UNUSED_PAD src0_sel:WORD_0 src1_sel:DWORD
	v_cndmask_b32_e32 v26, 20, v22, vcc
	v_lshrrev_b32_e32 v27, 8, v22
	v_cmp_ne_u32_e32 vcc, 21, v23
	v_cndmask_b32_e32 v27, 20, v27, vcc
	v_lshlrev_b16_e32 v27, 8, v27
	v_or_b32_sdwa v26, v26, v27 dst_sel:DWORD dst_unused:UNUSED_PAD src0_sel:BYTE_0 src1_sel:DWORD
	v_lshrrev_b32_e32 v27, 24, v22
	v_cmp_ne_u32_e32 vcc, 23, v23
	v_cndmask_b32_e32 v27, 20, v27, vcc
	v_lshrrev_b32_e32 v40, 16, v22
	v_cmp_ne_u32_e32 vcc, 22, v23
	v_lshlrev_b16_e32 v27, 8, v27
	v_cndmask_b32_e32 v40, 20, v40, vcc
	v_or_b32_sdwa v27, v40, v27 dst_sel:WORD_1 dst_unused:UNUSED_PAD src0_sel:BYTE_0 src1_sel:DWORD
	v_cmp_ne_u32_e32 vcc, 16, v23
	v_or_b32_sdwa v26, v26, v27 dst_sel:DWORD dst_unused:UNUSED_PAD src0_sel:WORD_0 src1_sel:DWORD
	;; [unrolled: 16-line block ×5, first 2 shown]
	v_cndmask_b32_e32 v42, 20, v20, vcc
	v_lshrrev_b32_e32 v43, 8, v20
	v_cmp_ne_u32_e32 vcc, 5, v23
	v_cndmask_b32_e32 v43, 20, v43, vcc
	v_lshlrev_b16_e32 v43, 8, v43
	v_or_b32_sdwa v42, v42, v43 dst_sel:DWORD dst_unused:UNUSED_PAD src0_sel:BYTE_0 src1_sel:DWORD
	v_lshrrev_b32_e32 v43, 24, v20
	v_cmp_ne_u32_e32 vcc, 7, v23
	v_cndmask_b32_e32 v43, 20, v43, vcc
	v_lshrrev_b32_e32 v44, 16, v20
	v_cmp_ne_u32_e32 vcc, 6, v23
	v_and_b32_e32 v24, 0x100000, v16
	v_lshlrev_b16_e32 v43, 8, v43
	v_cndmask_b32_e32 v44, 20, v44, vcc
	v_or_b32_sdwa v43, v44, v43 dst_sel:WORD_1 dst_unused:UNUSED_PAD src0_sel:BYTE_0 src1_sel:DWORD
	v_cmp_eq_u32_e32 vcc, 0, v24
	v_bfe_u32 v24, v16, 20, 1
	v_or_b32_sdwa v42, v42, v43 dst_sel:DWORD dst_unused:UNUSED_PAD src0_sel:WORD_0 src1_sel:DWORD
	v_add_u32_e32 v23, v23, v24
	v_cndmask_b32_e32 v19, v25, v19, vcc
	v_cndmask_b32_e32 v20, v42, v20, vcc
	;; [unrolled: 1-line block ×6, first 2 shown]
	v_cmp_ne_u32_e32 vcc, 0, v23
	v_cndmask_b32_e32 v25, 21, v19, vcc
	v_lshrrev_b32_e32 v26, 8, v19
	v_cmp_ne_u32_e32 vcc, 1, v23
	v_cndmask_b32_e32 v26, 21, v26, vcc
	v_lshlrev_b16_e32 v26, 8, v26
	v_or_b32_sdwa v25, v25, v26 dst_sel:DWORD dst_unused:UNUSED_PAD src0_sel:BYTE_0 src1_sel:DWORD
	v_lshrrev_b32_e32 v26, 24, v19
	v_cmp_ne_u32_e32 vcc, 3, v23
	v_cndmask_b32_e32 v26, 21, v26, vcc
	v_lshrrev_b32_e32 v27, 16, v19
	v_cmp_ne_u32_e32 vcc, 2, v23
	v_lshlrev_b16_e32 v26, 8, v26
	v_cndmask_b32_e32 v27, 21, v27, vcc
	v_or_b32_sdwa v26, v27, v26 dst_sel:WORD_1 dst_unused:UNUSED_PAD src0_sel:BYTE_0 src1_sel:DWORD
	v_cmp_ne_u32_e32 vcc, 20, v23
	v_or_b32_sdwa v25, v25, v26 dst_sel:DWORD dst_unused:UNUSED_PAD src0_sel:WORD_0 src1_sel:DWORD
	v_cndmask_b32_e32 v26, 21, v22, vcc
	v_lshrrev_b32_e32 v27, 8, v22
	v_cmp_ne_u32_e32 vcc, 21, v23
	v_cndmask_b32_e32 v27, 21, v27, vcc
	v_lshlrev_b16_e32 v27, 8, v27
	v_or_b32_sdwa v26, v26, v27 dst_sel:DWORD dst_unused:UNUSED_PAD src0_sel:BYTE_0 src1_sel:DWORD
	v_lshrrev_b32_e32 v27, 24, v22
	v_cmp_ne_u32_e32 vcc, 23, v23
	v_cndmask_b32_e32 v27, 21, v27, vcc
	v_lshrrev_b32_e32 v40, 16, v22
	v_cmp_ne_u32_e32 vcc, 22, v23
	v_lshlrev_b16_e32 v27, 8, v27
	v_cndmask_b32_e32 v40, 21, v40, vcc
	v_or_b32_sdwa v27, v40, v27 dst_sel:WORD_1 dst_unused:UNUSED_PAD src0_sel:BYTE_0 src1_sel:DWORD
	v_cmp_ne_u32_e32 vcc, 16, v23
	v_or_b32_sdwa v26, v26, v27 dst_sel:DWORD dst_unused:UNUSED_PAD src0_sel:WORD_0 src1_sel:DWORD
	;; [unrolled: 16-line block ×5, first 2 shown]
	v_cndmask_b32_e32 v42, 21, v20, vcc
	v_lshrrev_b32_e32 v43, 8, v20
	v_cmp_ne_u32_e32 vcc, 5, v23
	v_cndmask_b32_e32 v43, 21, v43, vcc
	v_lshlrev_b16_e32 v43, 8, v43
	v_or_b32_sdwa v42, v42, v43 dst_sel:DWORD dst_unused:UNUSED_PAD src0_sel:BYTE_0 src1_sel:DWORD
	v_lshrrev_b32_e32 v43, 24, v20
	v_cmp_ne_u32_e32 vcc, 7, v23
	v_cndmask_b32_e32 v43, 21, v43, vcc
	v_lshrrev_b32_e32 v44, 16, v20
	v_cmp_ne_u32_e32 vcc, 6, v23
	v_and_b32_e32 v24, 0x200000, v16
	v_lshlrev_b16_e32 v43, 8, v43
	v_cndmask_b32_e32 v44, 21, v44, vcc
	v_or_b32_sdwa v43, v44, v43 dst_sel:WORD_1 dst_unused:UNUSED_PAD src0_sel:BYTE_0 src1_sel:DWORD
	v_cmp_eq_u32_e32 vcc, 0, v24
	v_bfe_u32 v24, v16, 21, 1
	v_or_b32_sdwa v42, v42, v43 dst_sel:DWORD dst_unused:UNUSED_PAD src0_sel:WORD_0 src1_sel:DWORD
	v_add_u32_e32 v23, v23, v24
	v_cndmask_b32_e32 v19, v25, v19, vcc
	v_cndmask_b32_e32 v20, v42, v20, vcc
	;; [unrolled: 1-line block ×6, first 2 shown]
	v_cmp_ne_u32_e32 vcc, 0, v23
	v_cndmask_b32_e32 v25, 22, v19, vcc
	v_lshrrev_b32_e32 v26, 8, v19
	v_cmp_ne_u32_e32 vcc, 1, v23
	v_cndmask_b32_e32 v26, 22, v26, vcc
	v_lshlrev_b16_e32 v26, 8, v26
	v_or_b32_sdwa v25, v25, v26 dst_sel:DWORD dst_unused:UNUSED_PAD src0_sel:BYTE_0 src1_sel:DWORD
	v_lshrrev_b32_e32 v26, 24, v19
	v_cmp_ne_u32_e32 vcc, 3, v23
	v_cndmask_b32_e32 v26, 22, v26, vcc
	v_lshrrev_b32_e32 v27, 16, v19
	v_cmp_ne_u32_e32 vcc, 2, v23
	v_lshlrev_b16_e32 v26, 8, v26
	v_cndmask_b32_e32 v27, 22, v27, vcc
	v_or_b32_sdwa v26, v27, v26 dst_sel:WORD_1 dst_unused:UNUSED_PAD src0_sel:BYTE_0 src1_sel:DWORD
	v_cmp_ne_u32_e32 vcc, 20, v23
	v_or_b32_sdwa v25, v25, v26 dst_sel:DWORD dst_unused:UNUSED_PAD src0_sel:WORD_0 src1_sel:DWORD
	v_cndmask_b32_e32 v26, 22, v22, vcc
	v_lshrrev_b32_e32 v27, 8, v22
	v_cmp_ne_u32_e32 vcc, 21, v23
	v_cndmask_b32_e32 v27, 22, v27, vcc
	v_lshlrev_b16_e32 v27, 8, v27
	v_or_b32_sdwa v26, v26, v27 dst_sel:DWORD dst_unused:UNUSED_PAD src0_sel:BYTE_0 src1_sel:DWORD
	v_lshrrev_b32_e32 v27, 24, v22
	v_cmp_ne_u32_e32 vcc, 23, v23
	v_cndmask_b32_e32 v27, 22, v27, vcc
	v_lshrrev_b32_e32 v40, 16, v22
	v_cmp_ne_u32_e32 vcc, 22, v23
	v_lshlrev_b16_e32 v27, 8, v27
	v_cndmask_b32_e32 v40, 22, v40, vcc
	v_or_b32_sdwa v27, v40, v27 dst_sel:WORD_1 dst_unused:UNUSED_PAD src0_sel:BYTE_0 src1_sel:DWORD
	v_cmp_ne_u32_e32 vcc, 16, v23
	v_or_b32_sdwa v26, v26, v27 dst_sel:DWORD dst_unused:UNUSED_PAD src0_sel:WORD_0 src1_sel:DWORD
	;; [unrolled: 16-line block ×5, first 2 shown]
	v_cndmask_b32_e32 v42, 22, v20, vcc
	v_lshrrev_b32_e32 v43, 8, v20
	v_cmp_ne_u32_e32 vcc, 5, v23
	v_cndmask_b32_e32 v43, 22, v43, vcc
	v_lshlrev_b16_e32 v43, 8, v43
	v_or_b32_sdwa v42, v42, v43 dst_sel:DWORD dst_unused:UNUSED_PAD src0_sel:BYTE_0 src1_sel:DWORD
	v_lshrrev_b32_e32 v43, 24, v20
	v_cmp_ne_u32_e32 vcc, 7, v23
	v_and_b32_e32 v24, 0x400000, v16
	v_cndmask_b32_e32 v43, 22, v43, vcc
	v_lshrrev_b32_e32 v44, 16, v20
	v_cmp_ne_u32_e32 vcc, 6, v23
	v_lshlrev_b16_e32 v43, 8, v43
	v_cndmask_b32_e32 v44, 22, v44, vcc
	v_cmp_eq_u32_e32 vcc, 0, v24
	v_or_b32_sdwa v43, v44, v43 dst_sel:WORD_1 dst_unused:UNUSED_PAD src0_sel:BYTE_0 src1_sel:DWORD
	v_cndmask_b32_e32 v19, v25, v19, vcc
	v_cndmask_b32_e32 v25, v27, v17, vcc
	v_bfe_u32 v17, v16, 22, 1
	v_or_b32_sdwa v42, v42, v43 dst_sel:DWORD dst_unused:UNUSED_PAD src0_sel:WORD_0 src1_sel:DWORD
	v_add_u32_e32 v27, v23, v17
	v_cndmask_b32_e32 v20, v42, v20, vcc
	v_cndmask_b32_e32 v24, v41, v18, vcc
	;; [unrolled: 1-line block ×4, first 2 shown]
	v_cmp_ne_u32_e32 vcc, 0, v27
	v_cndmask_b32_e32 v18, 23, v19, vcc
	v_lshrrev_b32_e32 v22, 8, v19
	v_cmp_ne_u32_e32 vcc, 1, v27
	v_cndmask_b32_e32 v22, 23, v22, vcc
	v_lshlrev_b16_e32 v22, 8, v22
	v_or_b32_sdwa v18, v18, v22 dst_sel:DWORD dst_unused:UNUSED_PAD src0_sel:BYTE_0 src1_sel:DWORD
	v_lshrrev_b32_e32 v22, 24, v19
	v_cmp_ne_u32_e32 vcc, 3, v27
	v_cndmask_b32_e32 v22, 23, v22, vcc
	v_lshrrev_b32_e32 v23, 16, v19
	v_cmp_ne_u32_e32 vcc, 2, v27
	v_lshlrev_b16_e32 v22, 8, v22
	v_cndmask_b32_e32 v23, 23, v23, vcc
	v_or_b32_sdwa v22, v23, v22 dst_sel:WORD_1 dst_unused:UNUSED_PAD src0_sel:BYTE_0 src1_sel:DWORD
	v_cmp_ne_u32_e32 vcc, 20, v27
	v_or_b32_sdwa v18, v18, v22 dst_sel:DWORD dst_unused:UNUSED_PAD src0_sel:WORD_0 src1_sel:DWORD
	v_cndmask_b32_e32 v22, 23, v26, vcc
	v_lshrrev_b32_e32 v23, 8, v26
	v_cmp_ne_u32_e32 vcc, 21, v27
	v_cndmask_b32_e32 v23, 23, v23, vcc
	v_lshlrev_b16_e32 v23, 8, v23
	v_or_b32_sdwa v22, v22, v23 dst_sel:DWORD dst_unused:UNUSED_PAD src0_sel:BYTE_0 src1_sel:DWORD
	v_lshrrev_b32_e32 v23, 24, v26
	v_cmp_ne_u32_e32 vcc, 23, v27
	v_cndmask_b32_e32 v23, 23, v23, vcc
	v_lshrrev_b32_e32 v40, 16, v26
	v_cmp_ne_u32_e32 vcc, 22, v27
	v_lshlrev_b16_e32 v23, 8, v23
	v_cndmask_b32_e32 v40, 23, v40, vcc
	v_or_b32_sdwa v23, v40, v23 dst_sel:WORD_1 dst_unused:UNUSED_PAD src0_sel:BYTE_0 src1_sel:DWORD
	v_cmp_ne_u32_e32 vcc, 16, v27
	v_or_b32_sdwa v40, v22, v23 dst_sel:DWORD dst_unused:UNUSED_PAD src0_sel:WORD_0 src1_sel:DWORD
	;; [unrolled: 16-line block ×5, first 2 shown]
	v_cndmask_b32_e32 v42, 23, v20, vcc
	v_lshrrev_b32_e32 v43, 8, v20
	v_cmp_ne_u32_e32 vcc, 5, v27
	v_cndmask_b32_e32 v43, 23, v43, vcc
	v_lshlrev_b16_e32 v43, 8, v43
	v_or_b32_sdwa v42, v42, v43 dst_sel:DWORD dst_unused:UNUSED_PAD src0_sel:BYTE_0 src1_sel:DWORD
	v_lshrrev_b32_e32 v43, 24, v20
	v_cmp_ne_u32_e32 vcc, 7, v27
	v_cndmask_b32_e32 v43, 23, v43, vcc
	v_lshrrev_b32_e32 v44, 16, v20
	v_cmp_ne_u32_e32 vcc, 6, v27
	v_lshlrev_b16_e32 v43, 8, v43
	v_cndmask_b32_e32 v44, 23, v44, vcc
	v_and_b32_e32 v17, 0x800000, v16
	v_or_b32_sdwa v43, v44, v43 dst_sel:WORD_1 dst_unused:UNUSED_PAD src0_sel:BYTE_0 src1_sel:DWORD
	v_or_b32_sdwa v42, v42, v43 dst_sel:DWORD dst_unused:UNUSED_PAD src0_sel:WORD_0 src1_sel:DWORD
	v_cmp_eq_u32_e32 vcc, 0, v17
	v_cndmask_b32_e32 v17, v18, v19, vcc
	v_cndmask_b32_e32 v18, v42, v20, vcc
	v_lshrrev_b64 v[19:20], 24, v[17:18]
	v_cndmask_b32_e32 v20, v23, v24, vcc
	v_cndmask_b32_e32 v21, v22, v21, vcc
	v_lshrrev_b64 v[22:23], 24, v[20:21]
	;; [unrolled: 3-line block ×3, first 2 shown]
	v_bfe_u32 v16, v16, 23, 1
	v_add_u32_e32 v26, v27, v16
	v_lshrrev_b32_e32 v69, 16, v17
	v_lshrrev_b32_e32 v66, 8, v17
	;; [unrolled: 1-line block ×15, first 2 shown]
	v_cmp_ne_u32_e32 vcc, 0, v26
	s_and_saveexec_b64 s[4:5], vcc
	s_cbranch_execz .LBB1_318
; %bb.289:
	v_add_f64 v[42:43], v[34:35], v[34:35]
	s_mov_b32 s8, 0
	s_mov_b32 s10, 0x55555555
	v_mov_b32_e32 v27, 0
	s_mov_b64 s[6:7], 0
	s_mov_b32 s9, 0x3fd00000
	s_mov_b32 s11, 0x3fd55555
	v_mov_b32_e32 v16, 0xd0
	v_mul_f64 v[40:41], v[42:43], 0.5
	v_fma_f64 v[46:47], v[42:43], 0.5, 0
	v_mov_b32_e32 v62, 3
	s_mov_b64 s[12:13], 0
	v_fma_f64 v[44:45], v[40:41], 0.5, v[6:7]
	v_fma_f64 v[46:47], v[42:43], 0.5, v[46:47]
	v_fma_f64 v[48:49], v[40:41], v[44:45], 0
	v_fma_f64 v[42:43], v[42:43], 0.5, v[46:47]
	v_fma_f64 v[48:49], v[40:41], v[44:45], v[48:49]
	v_fma_f64 v[44:45], v[40:41], v[44:45], v[48:49]
	s_branch .LBB1_292
.LBB1_290:                              ;   in Loop: Header=BB1_292 Depth=1
	s_or_b64 exec, exec, s[16:17]
	v_mov_b32_e32 v68, v63
	v_mov_b32_e32 v63, v65
.LBB1_291:                              ;   in Loop: Header=BB1_292 Depth=1
	s_or_b64 exec, exec, s[14:15]
	v_lshl_add_u32 v65, v63, 3, v16
	buffer_load_dword v64, v65, s[0:3], 0 offen offset:68
	buffer_load_dword v63, v65, s[0:3], 0 offen offset:64
	v_lshl_add_u32 v68, v68, 3, v16
	buffer_load_dword v85, v65, s[0:3], 0 offen offset:4
	buffer_load_dword v87, v68, s[0:3], 0 offen offset:68
	;; [unrolled: 1-line block ×3, first 2 shown]
	buffer_load_dword v84, v65, s[0:3], 0 offen
	buffer_load_dword v88, v68, s[0:3], 0 offen
	buffer_load_dword v89, v68, s[0:3], 0 offen offset:4
	s_waitcnt vmcnt(20)
	v_add_f64 v[46:47], v[46:47], v[52:53]
	s_waitcnt vmcnt(12)
	v_add_f64 v[52:53], v[54:55], v[60:61]
	s_add_u32 s12, s12, 1
	s_addc_u32 s13, s13, 0
	v_cmp_eq_u64_e32 vcc, s[12:13], v[26:27]
	ds_write2_b64 v67, v[34:35], v[34:35] offset0:20 offset1:22
	s_or_b64 s[6:7], vcc, s[6:7]
	v_add_f64 v[46:47], v[46:47], v[50:51]
	s_waitcnt vmcnt(10)
	v_add_f64 v[50:51], v[52:53], v[58:59]
	v_add_f64 v[46:47], v[46:47], v[48:49]
	s_waitcnt vmcnt(8)
	v_add_f64 v[48:49], v[50:51], v[56:57]
	v_fma_f64 v[46:47], v[46:47], s[8:9], -v[0:1]
	v_fma_f64 v[48:49], v[48:49], s[8:9], -v[4:5]
	v_mul_f64 v[46:47], v[32:33], v[46:47]
	s_waitcnt vmcnt(3)
	v_add_f64 v[52:53], v[86:87], -v[4:5]
	v_add_f64 v[50:51], v[63:64], -v[4:5]
	s_waitcnt vmcnt(2)
	v_add_f64 v[54:55], v[84:85], -v[0:1]
	s_waitcnt vmcnt(0)
	v_add_f64 v[56:57], v[88:89], -v[0:1]
	v_mul_f64 v[58:59], v[30:31], v[52:53]
	v_mul_f64 v[50:51], v[30:31], v[50:51]
	v_fma_f64 v[60:61], -v[32:33], v[54:55], v[46:47]
	v_mul_f64 v[84:85], v[32:33], v[56:57]
	v_fma_f64 v[86:87], v[32:33], v[56:57], v[46:47]
	v_fma_f64 v[56:57], v[32:33], v[56:57], -v[46:47]
	v_fma_f64 v[90:91], v[32:33], v[54:55], v[46:47]
	v_fma_f64 v[88:89], v[30:31], v[48:49], v[58:59]
	;; [unrolled: 1-line block ×4, first 2 shown]
	v_fma_f64 v[92:93], v[32:33], v[54:55], -v[84:85]
	v_fma_f64 v[86:87], v[36:37], v[86:87], v[0:1]
	ds_write2_b64 v67, v[58:59], v[50:51] offset0:10 offset1:12
	v_mul_f64 v[60:61], v[60:61], v[63:64]
	v_fma_f64 v[63:64], v[38:39], v[63:64], v[4:5]
	v_fma_f64 v[86:87], v[40:41], v[86:87], 0
	v_fma_f64 v[56:57], v[56:57], v[88:89], v[60:61]
	v_fma_f64 v[60:61], v[38:39], v[88:89], v[4:5]
	v_fma_f64 v[88:89], v[36:37], v[90:91], v[0:1]
	v_fma_f64 v[90:91], v[32:33], v[54:55], v[84:85]
	v_mul_f64 v[54:55], v[32:33], v[54:55]
	v_fma_f64 v[56:57], v[92:93], v[52:53], v[56:57]
	v_fma_f64 v[60:61], v[40:41], v[60:61], 0
	;; [unrolled: 1-line block ×5, first 2 shown]
	ds_write2_b64 v67, v[84:85], v[54:55] offset1:2
	v_mul_f64 v[56:57], v[56:57], 0.5
	v_fma_f64 v[60:61], v[40:41], v[63:64], v[60:61]
	v_fma_f64 v[63:64], v[40:41], v[90:91], v[86:87]
	v_mul_f64 v[56:57], v[56:57], s[10:11]
	v_fma_f64 v[52:53], v[40:41], v[52:53], v[60:61]
	v_fma_f64 v[60:61], v[42:43], v[56:57], 0
	;; [unrolled: 1-line block ×9, first 2 shown]
	s_andn2_b64 exec, exec, s[6:7]
	s_cbranch_execz .LBB1_317
.LBB1_292:                              ; =>This Inner Loop Header: Depth=1
	s_cmp_eq_u32 s12, 1
	s_cselect_b64 vcc, -1, 0
	s_cmp_eq_u32 s12, 2
	v_cndmask_b32_e32 v46, v17, v66, vcc
	s_cselect_b64 vcc, -1, 0
	s_cmp_eq_u32 s12, 3
	v_cndmask_b32_e32 v46, v46, v69, vcc
	s_cselect_b64 vcc, -1, 0
	s_cmp_eq_u32 s12, 4
	v_cndmask_b32_e32 v46, v46, v19, vcc
	s_cselect_b64 vcc, -1, 0
	s_cmp_eq_u32 s12, 5
	v_cndmask_b32_e32 v46, v46, v18, vcc
	s_cselect_b64 vcc, -1, 0
	s_cmp_eq_u32 s12, 6
	v_cndmask_b32_e32 v46, v46, v76, vcc
	s_cselect_b64 vcc, -1, 0
	s_cmp_eq_u32 s12, 7
	v_cndmask_b32_e32 v46, v46, v75, vcc
	s_cselect_b64 vcc, -1, 0
	s_cmp_eq_u32 s12, 8
	v_cndmask_b32_e32 v46, v46, v74, vcc
	s_cselect_b64 vcc, -1, 0
	s_cmp_eq_u32 s12, 9
	v_cndmask_b32_e32 v46, v46, v20, vcc
	s_cselect_b64 vcc, -1, 0
	s_cmp_eq_u32 s12, 10
	v_cndmask_b32_e32 v46, v46, v78, vcc
	s_cselect_b64 vcc, -1, 0
	s_cmp_eq_u32 s12, 11
	v_cndmask_b32_e32 v46, v46, v70, vcc
	s_cselect_b64 vcc, -1, 0
	s_cmp_eq_u32 s12, 12
	v_cndmask_b32_e32 v46, v46, v22, vcc
	s_cselect_b64 vcc, -1, 0
	s_cmp_eq_u32 s12, 13
	v_cndmask_b32_e32 v46, v46, v21, vcc
	s_cselect_b64 vcc, -1, 0
	s_cmp_eq_u32 s12, 14
	v_cndmask_b32_e32 v46, v46, v80, vcc
	s_cselect_b64 vcc, -1, 0
	s_cmp_eq_u32 s12, 15
	v_cndmask_b32_e32 v46, v46, v71, vcc
	s_cselect_b64 vcc, -1, 0
	s_cmp_eq_u32 s12, 16
	v_cndmask_b32_e32 v46, v46, v79, vcc
	s_cselect_b64 vcc, -1, 0
	s_cmp_eq_u32 s12, 17
	v_cndmask_b32_e32 v46, v46, v23, vcc
	s_cselect_b64 vcc, -1, 0
	s_cmp_eq_u32 s12, 18
	v_cndmask_b32_e32 v46, v46, v81, vcc
	s_cselect_b64 vcc, -1, 0
	s_cmp_eq_u32 s12, 19
	v_cndmask_b32_e32 v46, v46, v72, vcc
	s_cselect_b64 vcc, -1, 0
	s_cmp_eq_u32 s12, 20
	v_cndmask_b32_e32 v46, v46, v25, vcc
	s_cselect_b64 vcc, -1, 0
	s_cmp_eq_u32 s12, 21
	v_cndmask_b32_e32 v46, v46, v24, vcc
	s_cselect_b64 vcc, -1, 0
	s_cmp_eq_u32 s12, 22
	v_cndmask_b32_e32 v46, v46, v83, vcc
	s_cselect_b64 vcc, -1, 0
	s_cmp_eq_u32 s12, 23
	v_cndmask_b32_e32 v46, v46, v73, vcc
	s_cselect_b64 vcc, -1, 0
	v_cndmask_b32_e32 v68, v46, v82, vcc
	v_bfe_u32 v63, v68, 2, 6
	v_cmp_lt_i32_e32 vcc, 1, v63
                                        ; implicit-def: $vgpr77
                                        ; implicit-def: $vgpr54
                                        ; implicit-def: $vgpr64
                                        ; implicit-def: $vgpr55
                                        ; implicit-def: $vgpr65
                                        ; implicit-def: $vgpr56
                                        ; implicit-def: $vgpr57
	s_and_saveexec_b64 s[14:15], vcc
	s_xor_b64 s[14:15], exec, s[14:15]
	s_cbranch_execz .LBB1_304
; %bb.293:                              ;   in Loop: Header=BB1_292 Depth=1
	v_cmp_lt_i32_e32 vcc, 2, v63
                                        ; implicit-def: $vgpr77
                                        ; implicit-def: $vgpr54
                                        ; implicit-def: $vgpr64
                                        ; implicit-def: $vgpr55
                                        ; implicit-def: $vgpr65
                                        ; implicit-def: $vgpr56
                                        ; implicit-def: $vgpr57
	s_and_saveexec_b64 s[16:17], vcc
	s_xor_b64 s[16:17], exec, s[16:17]
	s_cbranch_execz .LBB1_301
; %bb.294:                              ;   in Loop: Header=BB1_292 Depth=1
	;; [unrolled: 12-line block ×3, first 2 shown]
	v_cmp_ne_u32_e32 vcc, 4, v63
	s_and_saveexec_b64 s[20:21], vcc
	s_xor_b64 s[20:21], exec, s[20:21]
	s_or_saveexec_b64 s[20:21], s[20:21]
	v_mov_b32_e32 v63, 4
	v_mov_b32_e32 v65, 6
	;; [unrolled: 1-line block ×8, first 2 shown]
	s_xor_b64 exec, exec, s[20:21]
; %bb.296:                              ;   in Loop: Header=BB1_292 Depth=1
	v_mov_b32_e32 v63, 0
	v_mov_b32_e32 v65, 1
	;; [unrolled: 1-line block ×8, first 2 shown]
; %bb.297:                              ;   in Loop: Header=BB1_292 Depth=1
	s_or_b64 exec, exec, s[20:21]
.LBB1_298:                              ;   in Loop: Header=BB1_292 Depth=1
	s_andn2_saveexec_b64 s[18:19], s[18:19]
; %bb.299:                              ;   in Loop: Header=BB1_292 Depth=1
	v_mov_b32_e32 v63, 2
	v_mov_b32_e32 v65, 3
	;; [unrolled: 1-line block ×8, first 2 shown]
; %bb.300:                              ;   in Loop: Header=BB1_292 Depth=1
	s_or_b64 exec, exec, s[18:19]
.LBB1_301:                              ;   in Loop: Header=BB1_292 Depth=1
	s_andn2_saveexec_b64 s[16:17], s[16:17]
; %bb.302:                              ;   in Loop: Header=BB1_292 Depth=1
	v_mov_b32_e32 v63, 0
	v_mov_b32_e32 v65, 4
	;; [unrolled: 1-line block ×8, first 2 shown]
; %bb.303:                              ;   in Loop: Header=BB1_292 Depth=1
	s_or_b64 exec, exec, s[16:17]
.LBB1_304:                              ;   in Loop: Header=BB1_292 Depth=1
	s_andn2_saveexec_b64 s[14:15], s[14:15]
	s_cbranch_execz .LBB1_308
; %bb.305:                              ;   in Loop: Header=BB1_292 Depth=1
	v_cmp_lt_i32_e32 vcc, 0, v63
	v_mov_b32_e32 v65, 2
	v_mov_b32_e32 v64, 6
	;; [unrolled: 1-line block ×7, first 2 shown]
	s_and_saveexec_b64 s[16:17], vcc
; %bb.306:                              ;   in Loop: Header=BB1_292 Depth=1
	v_mov_b32_e32 v63, 1
	v_mov_b32_e32 v65, 5
	;; [unrolled: 1-line block ×8, first 2 shown]
; %bb.307:                              ;   in Loop: Header=BB1_292 Depth=1
	s_or_b64 exec, exec, s[16:17]
.LBB1_308:                              ;   in Loop: Header=BB1_292 Depth=1
	s_or_b64 exec, exec, s[14:15]
	v_lshl_add_u32 v84, v63, 3, v16
	buffer_load_dword v46, v57, s[0:3], 0 offen
	buffer_load_dword v47, v57, s[0:3], 0 offen offset:4
	buffer_load_dword v52, v56, s[0:3], 0 offen
	buffer_load_dword v53, v56, s[0:3], 0 offen offset:4
	;; [unrolled: 2-line block ×4, first 2 shown]
	v_lshl_add_u32 v85, v65, 3, v16
	v_lshl_add_u32 v86, v64, 3, v16
	;; [unrolled: 1-line block ×3, first 2 shown]
	buffer_load_dword v54, v84, s[0:3], 0 offen offset:64
	buffer_load_dword v55, v84, s[0:3], 0 offen offset:68
	;; [unrolled: 1-line block ×8, first 2 shown]
	v_and_b32_sdwa v84, v68, v62 dst_sel:DWORD dst_unused:UNUSED_PAD src0_sel:BYTE_0 src1_sel:DWORD
	v_cmp_lt_i32_e32 vcc, 1, v84
                                        ; implicit-def: $vgpr68
	s_and_saveexec_b64 s[14:15], vcc
	s_xor_b64 s[14:15], exec, s[14:15]
	s_cbranch_execz .LBB1_314
; %bb.309:                              ;   in Loop: Header=BB1_292 Depth=1
	v_cmp_lt_i32_e32 vcc, 2, v84
	s_and_saveexec_b64 s[16:17], vcc
	s_xor_b64 s[16:17], exec, s[16:17]
; %bb.310:                              ;   in Loop: Header=BB1_292 Depth=1
                                        ; implicit-def: $vgpr64
; %bb.311:                              ;   in Loop: Header=BB1_292 Depth=1
	s_or_saveexec_b64 s[16:17], s[16:17]
	v_mov_b32_e32 v68, v77
	s_xor_b64 exec, exec, s[16:17]
; %bb.312:                              ;   in Loop: Header=BB1_292 Depth=1
	v_mov_b32_e32 v68, v64
	v_mov_b32_e32 v63, v77
; %bb.313:                              ;   in Loop: Header=BB1_292 Depth=1
	s_or_b64 exec, exec, s[16:17]
                                        ; implicit-def: $vgpr65
                                        ; implicit-def: $vgpr64
                                        ; implicit-def: $vgpr84
.LBB1_314:                              ;   in Loop: Header=BB1_292 Depth=1
	s_andn2_saveexec_b64 s[14:15], s[14:15]
	s_cbranch_execz .LBB1_291
; %bb.315:                              ;   in Loop: Header=BB1_292 Depth=1
	v_cmp_eq_u32_e32 vcc, 1, v84
	s_and_saveexec_b64 s[16:17], vcc
	s_cbranch_execz .LBB1_290
; %bb.316:                              ;   in Loop: Header=BB1_292 Depth=1
	v_mov_b32_e32 v63, v65
	v_mov_b32_e32 v65, v64
	s_branch .LBB1_290
.LBB1_317:
	s_or_b64 exec, exec, s[6:7]
	v_mul_f64 v[26:27], v[30:31], v[48:49]
	ds_write2_b64 v67, v[46:47], v[26:27] offset0:1 offset1:11
	ds_write_b64 v67, v[34:35] offset:168
.LBB1_318:
	s_or_b64 exec, exec, s[4:5]
	buffer_load_dword v27, off, s[0:3], 0
	s_waitcnt vmcnt(0)
	v_and_b32_e32 v93, 1, v27
	v_bfe_u32 v16, v27, 1, 1
	v_bfe_u32 v26, v27, 2, 1
	v_add_u32_e32 v92, v16, v93
	v_bfe_u32 v34, v27, 3, 1
	v_add_u32_e32 v91, v92, v26
	;; [unrolled: 2-line block ×21, first 2 shown]
	v_add_u32_e32 v26, v34, v63
	v_bfe_u32 v16, v27, 23, 1
	v_add_u32_e32 v16, v26, v16
	v_cmp_ne_u32_e32 vcc, 0, v16
	s_and_saveexec_b64 s[4:5], vcc
	s_cbranch_execz .LBB1_348
; %bb.319:
	s_mov_b32 s6, 0xc0c0004
	v_perm_b32 v19, v69, v19, s6
	v_perm_b32 v17, v17, v66, s6
	v_lshlrev_b32_e32 v19, 16, v19
	v_lshlrev_b16_e32 v66, 8, v66
	v_or_b32_e32 v17, v17, v19
	v_or_b32_e32 v19, v66, v19
	v_cmp_eq_u32_e32 vcc, 0, v93
	v_cndmask_b32_e32 v17, v19, v17, vcc
	v_perm_b32 v82, v73, v82, s6
	v_perm_b32 v25, v72, v25, s6
	;; [unrolled: 1-line block ×4, first 2 shown]
	v_and_b32_e32 v66, 0xff, v70
	v_and_b32_e32 v70, 0xff, v71
	;; [unrolled: 1-line block ×4, first 2 shown]
	v_lshrrev_b32_e32 v73, 8, v17
	v_cndmask_b32_e32 v73, 1, v73, vcc
	v_cndmask_b32_e64 v19, v17, 1, vcc
	v_lshlrev_b16_e32 v73, 8, v73
	v_or_b32_sdwa v19, v19, v73 dst_sel:DWORD dst_unused:UNUSED_PAD src0_sel:BYTE_0 src1_sel:DWORD
	v_lshrrev_b32_e32 v73, 24, v17
	v_cmp_ne_u32_e32 vcc, 3, v93
	v_cndmask_b32_e32 v73, 1, v73, vcc
	v_lshrrev_b32_e32 v100, 16, v17
	v_cmp_ne_u32_e32 vcc, 2, v93
	v_perm_b32 v24, v24, v83, s6
	v_perm_b32 v21, v21, v80, s6
	v_lshlrev_b16_e32 v73, 8, v73
	v_cndmask_b32_e32 v100, 1, v100, vcc
	v_cmp_ne_u32_e32 vcc, 20, v93
	v_lshl_or_b32 v83, v82, 16, v24
	v_lshl_or_b32 v80, v79, 16, v21
	v_lshrrev_b32_e32 v69, 8, v79
	v_lshrrev_b32_e32 v79, 8, v82
	;; [unrolled: 1-line block ×3, first 2 shown]
	v_or_b32_sdwa v73, v100, v73 dst_sel:WORD_1 dst_unused:UNUSED_PAD src0_sel:BYTE_0 src1_sel:DWORD
	v_cndmask_b32_e32 v24, 1, v24, vcc
	v_cmp_ne_u32_e32 vcc, 21, v93
	v_or_b32_sdwa v19, v19, v73 dst_sel:DWORD dst_unused:UNUSED_PAD src0_sel:WORD_0 src1_sel:DWORD
	v_cndmask_b32_e32 v73, 1, v82, vcc
	v_cmp_ne_u32_e32 vcc, 22, v93
	v_lshlrev_b16_e32 v73, 8, v73
	v_cndmask_b32_e32 v72, 1, v72, vcc
	v_cmp_ne_u32_e32 vcc, 23, v93
	v_lshlrev_b16_e32 v81, 8, v81
	v_or_b32_sdwa v24, v24, v73 dst_sel:DWORD dst_unused:UNUSED_PAD src0_sel:BYTE_0 src1_sel:DWORD
	v_cndmask_b32_e32 v73, 1, v79, vcc
	v_or_b32_sdwa v23, v23, v81 dst_sel:DWORD dst_unused:UNUSED_PAD src0_sel:BYTE_0 src1_sel:DWORD
	v_lshlrev_b16_e32 v73, 8, v73
	v_and_b32_e32 v81, 0xffff, v23
	v_or_b32_sdwa v72, v72, v73 dst_sel:WORD_1 dst_unused:UNUSED_PAD src0_sel:DWORD src1_sel:DWORD
	v_cmp_ne_u32_e32 vcc, 16, v93
	v_or_b32_sdwa v24, v24, v72 dst_sel:DWORD dst_unused:UNUSED_PAD src0_sel:WORD_0 src1_sel:DWORD
	v_cndmask_b32_e32 v23, 1, v23, vcc
	v_lshrrev_b32_e32 v72, 8, v81
	v_cmp_ne_u32_e32 vcc, 17, v93
	v_cndmask_b32_e32 v72, 1, v72, vcc
	v_cmp_ne_u32_e32 vcc, 18, v93
	v_lshl_or_b32 v98, v25, 16, v81
	v_cndmask_b32_e32 v71, 1, v71, vcc
	v_lshrrev_b32_e32 v25, 8, v25
	v_cmp_ne_u32_e32 vcc, 19, v93
	v_cndmask_b32_e32 v25, 1, v25, vcc
	v_lshlrev_b16_e32 v72, 8, v72
	v_lshlrev_b16_e32 v25, 8, v25
	v_cmp_ne_u32_e32 vcc, 12, v93
	v_perm_b32 v18, v18, v76, s6
	v_lshrrev_b32_e32 v76, 8, v21
	v_or_b32_sdwa v23, v23, v72 dst_sel:DWORD dst_unused:UNUSED_PAD src0_sel:BYTE_0 src1_sel:DWORD
	v_or_b32_sdwa v25, v71, v25 dst_sel:WORD_1 dst_unused:UNUSED_PAD src0_sel:DWORD src1_sel:DWORD
	v_cndmask_b32_e32 v21, 1, v21, vcc
	v_cmp_ne_u32_e32 vcc, 13, v93
	v_or_b32_sdwa v23, v23, v25 dst_sel:DWORD dst_unused:UNUSED_PAD src0_sel:WORD_0 src1_sel:DWORD
	v_cndmask_b32_e32 v25, 1, v76, vcc
	v_lshlrev_b16_e32 v25, 8, v25
	v_cmp_ne_u32_e32 vcc, 14, v93
	v_or_b32_sdwa v21, v21, v25 dst_sel:DWORD dst_unused:UNUSED_PAD src0_sel:BYTE_0 src1_sel:DWORD
	v_cndmask_b32_e32 v25, 1, v70, vcc
	v_cmp_ne_u32_e32 vcc, 15, v93
	v_lshlrev_b16_e32 v78, 8, v78
	v_cndmask_b32_e32 v69, 1, v69, vcc
	v_or_b32_sdwa v20, v20, v78 dst_sel:DWORD dst_unused:UNUSED_PAD src0_sel:BYTE_0 src1_sel:DWORD
	v_lshlrev_b16_e32 v69, 8, v69
	v_and_b32_e32 v78, 0xffff, v20
	v_or_b32_sdwa v25, v25, v69 dst_sel:WORD_1 dst_unused:UNUSED_PAD src0_sel:DWORD src1_sel:DWORD
	v_cmp_ne_u32_e32 vcc, 8, v93
	v_or_b32_sdwa v21, v21, v25 dst_sel:DWORD dst_unused:UNUSED_PAD src0_sel:WORD_0 src1_sel:DWORD
	v_cndmask_b32_e32 v20, 1, v20, vcc
	v_lshrrev_b32_e32 v25, 8, v78
	v_cmp_ne_u32_e32 vcc, 9, v93
	v_cndmask_b32_e32 v25, 1, v25, vcc
	v_lshlrev_b16_e32 v25, 8, v25
	v_cmp_ne_u32_e32 vcc, 10, v93
	v_lshl_or_b32 v99, v22, 16, v78
	v_or_b32_sdwa v20, v20, v25 dst_sel:DWORD dst_unused:UNUSED_PAD src0_sel:BYTE_0 src1_sel:DWORD
	v_cndmask_b32_e32 v25, 1, v66, vcc
	v_lshrrev_b32_e32 v22, 8, v22
	v_cmp_ne_u32_e32 vcc, 11, v93
	v_perm_b32 v74, v75, v74, s6
	v_cndmask_b32_e32 v22, 1, v22, vcc
	v_lshlrev_b32_e32 v75, 16, v74
	v_lshlrev_b16_e32 v22, 8, v22
	v_or_b32_e32 v75, v18, v75
	v_or_b32_sdwa v22, v25, v22 dst_sel:WORD_1 dst_unused:UNUSED_PAD src0_sel:DWORD src1_sel:DWORD
	v_or_b32_sdwa v20, v20, v22 dst_sel:DWORD dst_unused:UNUSED_PAD src0_sel:WORD_0 src1_sel:DWORD
	v_lshrrev_b32_e32 v22, 8, v75
	v_cmp_ne_u32_e32 vcc, 5, v93
	v_cndmask_b32_e32 v22, 1, v22, vcc
	v_cmp_ne_u32_e32 vcc, 4, v93
	v_lshlrev_b16_e32 v22, 8, v22
	v_cndmask_b32_e32 v18, 1, v18, vcc
	v_cmp_ne_u32_e32 vcc, 6, v93
	v_or_b32_sdwa v18, v18, v22 dst_sel:DWORD dst_unused:UNUSED_PAD src0_sel:BYTE_0 src1_sel:DWORD
	v_cndmask_b32_e32 v22, 1, v74, vcc
	v_bfe_u32 v25, v74, 8, 8
	v_cmp_ne_u32_e32 vcc, 7, v93
	v_cndmask_b32_e32 v25, 1, v25, vcc
	v_lshlrev_b16_e32 v25, 8, v25
	v_and_b32_e32 v94, 2, v27
	v_or_b32_sdwa v22, v22, v25 dst_sel:WORD_1 dst_unused:UNUSED_PAD src0_sel:BYTE_0 src1_sel:DWORD
	v_or_b32_sdwa v18, v18, v22 dst_sel:DWORD dst_unused:UNUSED_PAD src0_sel:WORD_0 src1_sel:DWORD
	v_cmp_eq_u32_e32 vcc, 0, v94
	v_cndmask_b32_e32 v17, v19, v17, vcc
	v_cndmask_b32_e32 v18, v18, v75, vcc
	;; [unrolled: 1-line block ×6, first 2 shown]
	v_cmp_ne_u32_e32 vcc, 0, v92
	v_cndmask_b32_e32 v23, 2, v17, vcc
	v_lshrrev_b32_e32 v24, 8, v17
	v_cmp_ne_u32_e32 vcc, 1, v92
	v_cndmask_b32_e32 v24, 2, v24, vcc
	v_lshlrev_b16_e32 v24, 8, v24
	v_or_b32_sdwa v23, v23, v24 dst_sel:DWORD dst_unused:UNUSED_PAD src0_sel:BYTE_0 src1_sel:DWORD
	v_lshrrev_b32_e32 v24, 24, v17
	v_cmp_ne_u32_e32 vcc, 3, v92
	v_cndmask_b32_e32 v24, 2, v24, vcc
	v_lshrrev_b32_e32 v25, 16, v17
	v_cmp_ne_u32_e32 vcc, 2, v92
	v_lshlrev_b16_e32 v24, 8, v24
	v_cndmask_b32_e32 v25, 2, v25, vcc
	v_or_b32_sdwa v24, v25, v24 dst_sel:WORD_1 dst_unused:UNUSED_PAD src0_sel:BYTE_0 src1_sel:DWORD
	v_cmp_ne_u32_e32 vcc, 20, v92
	v_or_b32_sdwa v23, v23, v24 dst_sel:DWORD dst_unused:UNUSED_PAD src0_sel:WORD_0 src1_sel:DWORD
	v_cndmask_b32_e32 v24, 2, v22, vcc
	v_lshrrev_b32_e32 v25, 8, v22
	v_cmp_ne_u32_e32 vcc, 21, v92
	v_cndmask_b32_e32 v25, 2, v25, vcc
	v_lshlrev_b16_e32 v25, 8, v25
	v_or_b32_sdwa v24, v24, v25 dst_sel:DWORD dst_unused:UNUSED_PAD src0_sel:BYTE_0 src1_sel:DWORD
	v_lshrrev_b32_e32 v25, 24, v22
	v_cmp_ne_u32_e32 vcc, 23, v92
	v_cndmask_b32_e32 v25, 2, v25, vcc
	v_lshrrev_b32_e32 v66, 16, v22
	v_cmp_ne_u32_e32 vcc, 22, v92
	v_lshlrev_b16_e32 v25, 8, v25
	v_cndmask_b32_e32 v66, 2, v66, vcc
	v_or_b32_sdwa v25, v66, v25 dst_sel:WORD_1 dst_unused:UNUSED_PAD src0_sel:BYTE_0 src1_sel:DWORD
	v_cmp_ne_u32_e32 vcc, 16, v92
	v_or_b32_sdwa v24, v24, v25 dst_sel:DWORD dst_unused:UNUSED_PAD src0_sel:WORD_0 src1_sel:DWORD
	;; [unrolled: 16-line block ×5, first 2 shown]
	v_cndmask_b32_e32 v70, 2, v18, vcc
	v_lshrrev_b32_e32 v71, 8, v18
	v_cmp_ne_u32_e32 vcc, 5, v92
	v_cndmask_b32_e32 v71, 2, v71, vcc
	v_lshlrev_b16_e32 v71, 8, v71
	v_or_b32_sdwa v70, v70, v71 dst_sel:DWORD dst_unused:UNUSED_PAD src0_sel:BYTE_0 src1_sel:DWORD
	v_lshrrev_b32_e32 v71, 24, v18
	v_cmp_ne_u32_e32 vcc, 7, v92
	v_cndmask_b32_e32 v71, 2, v71, vcc
	v_lshrrev_b32_e32 v72, 16, v18
	v_cmp_ne_u32_e32 vcc, 6, v92
	v_lshlrev_b16_e32 v71, 8, v71
	v_cndmask_b32_e32 v72, 2, v72, vcc
	v_and_b32_e32 v95, 4, v27
	v_or_b32_sdwa v71, v72, v71 dst_sel:WORD_1 dst_unused:UNUSED_PAD src0_sel:BYTE_0 src1_sel:DWORD
	v_or_b32_sdwa v70, v70, v71 dst_sel:DWORD dst_unused:UNUSED_PAD src0_sel:WORD_0 src1_sel:DWORD
	v_cmp_eq_u32_e32 vcc, 0, v95
	v_cndmask_b32_e32 v17, v23, v17, vcc
	v_cndmask_b32_e32 v18, v70, v18, vcc
	;; [unrolled: 1-line block ×6, first 2 shown]
	v_cmp_ne_u32_e32 vcc, 0, v91
	v_cndmask_b32_e32 v23, 3, v17, vcc
	v_lshrrev_b32_e32 v24, 8, v17
	v_cmp_ne_u32_e32 vcc, 1, v91
	v_cndmask_b32_e32 v24, 3, v24, vcc
	v_lshlrev_b16_e32 v24, 8, v24
	v_or_b32_sdwa v23, v23, v24 dst_sel:DWORD dst_unused:UNUSED_PAD src0_sel:BYTE_0 src1_sel:DWORD
	v_lshrrev_b32_e32 v24, 24, v17
	v_cmp_ne_u32_e32 vcc, 3, v91
	v_cndmask_b32_e32 v24, 3, v24, vcc
	v_lshrrev_b32_e32 v25, 16, v17
	v_cmp_ne_u32_e32 vcc, 2, v91
	v_lshlrev_b16_e32 v24, 8, v24
	v_cndmask_b32_e32 v25, 3, v25, vcc
	v_or_b32_sdwa v24, v25, v24 dst_sel:WORD_1 dst_unused:UNUSED_PAD src0_sel:BYTE_0 src1_sel:DWORD
	v_cmp_ne_u32_e32 vcc, 20, v91
	v_or_b32_sdwa v23, v23, v24 dst_sel:DWORD dst_unused:UNUSED_PAD src0_sel:WORD_0 src1_sel:DWORD
	v_cndmask_b32_e32 v24, 3, v22, vcc
	v_lshrrev_b32_e32 v25, 8, v22
	v_cmp_ne_u32_e32 vcc, 21, v91
	v_cndmask_b32_e32 v25, 3, v25, vcc
	v_lshlrev_b16_e32 v25, 8, v25
	v_or_b32_sdwa v24, v24, v25 dst_sel:DWORD dst_unused:UNUSED_PAD src0_sel:BYTE_0 src1_sel:DWORD
	v_lshrrev_b32_e32 v25, 24, v22
	v_cmp_ne_u32_e32 vcc, 23, v91
	v_cndmask_b32_e32 v25, 3, v25, vcc
	v_lshrrev_b32_e32 v66, 16, v22
	v_cmp_ne_u32_e32 vcc, 22, v91
	v_lshlrev_b16_e32 v25, 8, v25
	v_cndmask_b32_e32 v66, 3, v66, vcc
	v_or_b32_sdwa v25, v66, v25 dst_sel:WORD_1 dst_unused:UNUSED_PAD src0_sel:BYTE_0 src1_sel:DWORD
	v_cmp_ne_u32_e32 vcc, 16, v91
	v_or_b32_sdwa v24, v24, v25 dst_sel:DWORD dst_unused:UNUSED_PAD src0_sel:WORD_0 src1_sel:DWORD
	;; [unrolled: 16-line block ×5, first 2 shown]
	v_cndmask_b32_e32 v70, 3, v18, vcc
	v_lshrrev_b32_e32 v71, 8, v18
	v_cmp_ne_u32_e32 vcc, 5, v91
	v_cndmask_b32_e32 v71, 3, v71, vcc
	v_lshlrev_b16_e32 v71, 8, v71
	v_or_b32_sdwa v70, v70, v71 dst_sel:DWORD dst_unused:UNUSED_PAD src0_sel:BYTE_0 src1_sel:DWORD
	v_lshrrev_b32_e32 v71, 24, v18
	v_cmp_ne_u32_e32 vcc, 7, v91
	v_cndmask_b32_e32 v71, 3, v71, vcc
	v_lshrrev_b32_e32 v72, 16, v18
	v_cmp_ne_u32_e32 vcc, 6, v91
	v_lshlrev_b16_e32 v71, 8, v71
	v_cndmask_b32_e32 v72, 3, v72, vcc
	v_and_b32_e32 v96, 8, v27
	v_or_b32_sdwa v71, v72, v71 dst_sel:WORD_1 dst_unused:UNUSED_PAD src0_sel:BYTE_0 src1_sel:DWORD
	v_or_b32_sdwa v70, v70, v71 dst_sel:DWORD dst_unused:UNUSED_PAD src0_sel:WORD_0 src1_sel:DWORD
	v_cmp_eq_u32_e32 vcc, 0, v96
	v_cndmask_b32_e32 v17, v23, v17, vcc
	v_cndmask_b32_e32 v18, v70, v18, vcc
	;; [unrolled: 1-line block ×6, first 2 shown]
	v_cmp_ne_u32_e32 vcc, 0, v90
	v_cndmask_b32_e32 v23, 4, v17, vcc
	v_lshrrev_b32_e32 v24, 8, v17
	v_cmp_ne_u32_e32 vcc, 1, v90
	v_cndmask_b32_e32 v24, 4, v24, vcc
	v_lshlrev_b16_e32 v24, 8, v24
	v_or_b32_sdwa v23, v23, v24 dst_sel:DWORD dst_unused:UNUSED_PAD src0_sel:BYTE_0 src1_sel:DWORD
	v_lshrrev_b32_e32 v24, 24, v17
	v_cmp_ne_u32_e32 vcc, 3, v90
	v_cndmask_b32_e32 v24, 4, v24, vcc
	v_lshrrev_b32_e32 v25, 16, v17
	v_cmp_ne_u32_e32 vcc, 2, v90
	v_lshlrev_b16_e32 v24, 8, v24
	v_cndmask_b32_e32 v25, 4, v25, vcc
	v_or_b32_sdwa v24, v25, v24 dst_sel:WORD_1 dst_unused:UNUSED_PAD src0_sel:BYTE_0 src1_sel:DWORD
	v_cmp_ne_u32_e32 vcc, 20, v90
	v_or_b32_sdwa v23, v23, v24 dst_sel:DWORD dst_unused:UNUSED_PAD src0_sel:WORD_0 src1_sel:DWORD
	v_cndmask_b32_e32 v24, 4, v22, vcc
	v_lshrrev_b32_e32 v25, 8, v22
	v_cmp_ne_u32_e32 vcc, 21, v90
	v_cndmask_b32_e32 v25, 4, v25, vcc
	v_lshlrev_b16_e32 v25, 8, v25
	v_or_b32_sdwa v24, v24, v25 dst_sel:DWORD dst_unused:UNUSED_PAD src0_sel:BYTE_0 src1_sel:DWORD
	v_lshrrev_b32_e32 v25, 24, v22
	v_cmp_ne_u32_e32 vcc, 23, v90
	v_cndmask_b32_e32 v25, 4, v25, vcc
	v_lshrrev_b32_e32 v66, 16, v22
	v_cmp_ne_u32_e32 vcc, 22, v90
	v_lshlrev_b16_e32 v25, 8, v25
	v_cndmask_b32_e32 v66, 4, v66, vcc
	v_or_b32_sdwa v25, v66, v25 dst_sel:WORD_1 dst_unused:UNUSED_PAD src0_sel:BYTE_0 src1_sel:DWORD
	v_cmp_ne_u32_e32 vcc, 16, v90
	v_or_b32_sdwa v24, v24, v25 dst_sel:DWORD dst_unused:UNUSED_PAD src0_sel:WORD_0 src1_sel:DWORD
	;; [unrolled: 16-line block ×5, first 2 shown]
	v_cndmask_b32_e32 v70, 4, v18, vcc
	v_lshrrev_b32_e32 v71, 8, v18
	v_cmp_ne_u32_e32 vcc, 5, v90
	v_cndmask_b32_e32 v71, 4, v71, vcc
	v_lshlrev_b16_e32 v71, 8, v71
	v_or_b32_sdwa v70, v70, v71 dst_sel:DWORD dst_unused:UNUSED_PAD src0_sel:BYTE_0 src1_sel:DWORD
	v_lshrrev_b32_e32 v71, 24, v18
	v_cmp_ne_u32_e32 vcc, 7, v90
	v_cndmask_b32_e32 v71, 4, v71, vcc
	v_lshrrev_b32_e32 v72, 16, v18
	v_cmp_ne_u32_e32 vcc, 6, v90
	v_lshlrev_b16_e32 v71, 8, v71
	v_cndmask_b32_e32 v72, 4, v72, vcc
	v_and_b32_e32 v97, 16, v27
	v_or_b32_sdwa v71, v72, v71 dst_sel:WORD_1 dst_unused:UNUSED_PAD src0_sel:BYTE_0 src1_sel:DWORD
	v_or_b32_sdwa v70, v70, v71 dst_sel:DWORD dst_unused:UNUSED_PAD src0_sel:WORD_0 src1_sel:DWORD
	v_cmp_eq_u32_e32 vcc, 0, v97
	v_cndmask_b32_e32 v17, v23, v17, vcc
	v_cndmask_b32_e32 v18, v70, v18, vcc
	;; [unrolled: 1-line block ×6, first 2 shown]
	v_cmp_ne_u32_e32 vcc, 0, v88
	v_cndmask_b32_e32 v23, 5, v17, vcc
	v_lshrrev_b32_e32 v24, 8, v17
	v_cmp_ne_u32_e32 vcc, 1, v88
	v_cndmask_b32_e32 v24, 5, v24, vcc
	v_lshlrev_b16_e32 v24, 8, v24
	v_or_b32_sdwa v23, v23, v24 dst_sel:DWORD dst_unused:UNUSED_PAD src0_sel:BYTE_0 src1_sel:DWORD
	v_lshrrev_b32_e32 v24, 24, v17
	v_cmp_ne_u32_e32 vcc, 3, v88
	v_cndmask_b32_e32 v24, 5, v24, vcc
	v_lshrrev_b32_e32 v25, 16, v17
	v_cmp_ne_u32_e32 vcc, 2, v88
	v_lshlrev_b16_e32 v24, 8, v24
	v_cndmask_b32_e32 v25, 5, v25, vcc
	v_or_b32_sdwa v24, v25, v24 dst_sel:WORD_1 dst_unused:UNUSED_PAD src0_sel:BYTE_0 src1_sel:DWORD
	v_cmp_ne_u32_e32 vcc, 20, v88
	v_or_b32_sdwa v23, v23, v24 dst_sel:DWORD dst_unused:UNUSED_PAD src0_sel:WORD_0 src1_sel:DWORD
	v_cndmask_b32_e32 v24, 5, v22, vcc
	v_lshrrev_b32_e32 v25, 8, v22
	v_cmp_ne_u32_e32 vcc, 21, v88
	v_cndmask_b32_e32 v25, 5, v25, vcc
	v_lshlrev_b16_e32 v25, 8, v25
	v_or_b32_sdwa v24, v24, v25 dst_sel:DWORD dst_unused:UNUSED_PAD src0_sel:BYTE_0 src1_sel:DWORD
	v_lshrrev_b32_e32 v25, 24, v22
	v_cmp_ne_u32_e32 vcc, 23, v88
	v_cndmask_b32_e32 v25, 5, v25, vcc
	v_lshrrev_b32_e32 v66, 16, v22
	v_cmp_ne_u32_e32 vcc, 22, v88
	v_lshlrev_b16_e32 v25, 8, v25
	v_cndmask_b32_e32 v66, 5, v66, vcc
	v_or_b32_sdwa v25, v66, v25 dst_sel:WORD_1 dst_unused:UNUSED_PAD src0_sel:BYTE_0 src1_sel:DWORD
	v_cmp_ne_u32_e32 vcc, 16, v88
	v_or_b32_sdwa v24, v24, v25 dst_sel:DWORD dst_unused:UNUSED_PAD src0_sel:WORD_0 src1_sel:DWORD
	;; [unrolled: 16-line block ×5, first 2 shown]
	v_cndmask_b32_e32 v70, 5, v18, vcc
	v_lshrrev_b32_e32 v71, 8, v18
	v_cmp_ne_u32_e32 vcc, 5, v88
	v_cndmask_b32_e32 v71, 5, v71, vcc
	v_lshlrev_b16_e32 v71, 8, v71
	v_or_b32_sdwa v70, v70, v71 dst_sel:DWORD dst_unused:UNUSED_PAD src0_sel:BYTE_0 src1_sel:DWORD
	v_lshrrev_b32_e32 v71, 24, v18
	v_cmp_ne_u32_e32 vcc, 7, v88
	v_cndmask_b32_e32 v71, 5, v71, vcc
	v_lshrrev_b32_e32 v72, 16, v18
	v_cmp_ne_u32_e32 vcc, 6, v88
	v_lshlrev_b16_e32 v71, 8, v71
	v_cndmask_b32_e32 v72, 5, v72, vcc
	v_and_b32_e32 v89, 32, v27
	v_or_b32_sdwa v71, v72, v71 dst_sel:WORD_1 dst_unused:UNUSED_PAD src0_sel:BYTE_0 src1_sel:DWORD
	v_or_b32_sdwa v70, v70, v71 dst_sel:DWORD dst_unused:UNUSED_PAD src0_sel:WORD_0 src1_sel:DWORD
	v_cmp_eq_u32_e32 vcc, 0, v89
	v_cndmask_b32_e32 v17, v23, v17, vcc
	v_cndmask_b32_e32 v18, v70, v18, vcc
	v_cndmask_b32_e32 v19, v69, v19, vcc
	v_cndmask_b32_e32 v20, v66, v20, vcc
	v_cndmask_b32_e32 v21, v25, v21, vcc
	v_cndmask_b32_e32 v22, v24, v22, vcc
	v_cmp_ne_u32_e32 vcc, 0, v86
	v_cndmask_b32_e32 v23, 6, v17, vcc
	v_lshrrev_b32_e32 v24, 8, v17
	v_cmp_ne_u32_e32 vcc, 1, v86
	v_cndmask_b32_e32 v24, 6, v24, vcc
	v_lshlrev_b16_e32 v24, 8, v24
	v_or_b32_sdwa v23, v23, v24 dst_sel:DWORD dst_unused:UNUSED_PAD src0_sel:BYTE_0 src1_sel:DWORD
	v_lshrrev_b32_e32 v24, 24, v17
	v_cmp_ne_u32_e32 vcc, 3, v86
	v_cndmask_b32_e32 v24, 6, v24, vcc
	v_lshrrev_b32_e32 v25, 16, v17
	v_cmp_ne_u32_e32 vcc, 2, v86
	v_lshlrev_b16_e32 v24, 8, v24
	v_cndmask_b32_e32 v25, 6, v25, vcc
	v_or_b32_sdwa v24, v25, v24 dst_sel:WORD_1 dst_unused:UNUSED_PAD src0_sel:BYTE_0 src1_sel:DWORD
	v_cmp_ne_u32_e32 vcc, 20, v86
	v_or_b32_sdwa v23, v23, v24 dst_sel:DWORD dst_unused:UNUSED_PAD src0_sel:WORD_0 src1_sel:DWORD
	v_cndmask_b32_e32 v24, 6, v22, vcc
	v_lshrrev_b32_e32 v25, 8, v22
	v_cmp_ne_u32_e32 vcc, 21, v86
	v_cndmask_b32_e32 v25, 6, v25, vcc
	v_lshlrev_b16_e32 v25, 8, v25
	v_or_b32_sdwa v24, v24, v25 dst_sel:DWORD dst_unused:UNUSED_PAD src0_sel:BYTE_0 src1_sel:DWORD
	v_lshrrev_b32_e32 v25, 24, v22
	v_cmp_ne_u32_e32 vcc, 23, v86
	v_cndmask_b32_e32 v25, 6, v25, vcc
	v_lshrrev_b32_e32 v66, 16, v22
	v_cmp_ne_u32_e32 vcc, 22, v86
	v_lshlrev_b16_e32 v25, 8, v25
	v_cndmask_b32_e32 v66, 6, v66, vcc
	v_or_b32_sdwa v25, v66, v25 dst_sel:WORD_1 dst_unused:UNUSED_PAD src0_sel:BYTE_0 src1_sel:DWORD
	v_cmp_ne_u32_e32 vcc, 16, v86
	v_or_b32_sdwa v24, v24, v25 dst_sel:DWORD dst_unused:UNUSED_PAD src0_sel:WORD_0 src1_sel:DWORD
	;; [unrolled: 16-line block ×5, first 2 shown]
	v_cndmask_b32_e32 v70, 6, v18, vcc
	v_lshrrev_b32_e32 v71, 8, v18
	v_cmp_ne_u32_e32 vcc, 5, v86
	v_cndmask_b32_e32 v71, 6, v71, vcc
	v_lshlrev_b16_e32 v71, 8, v71
	v_or_b32_sdwa v70, v70, v71 dst_sel:DWORD dst_unused:UNUSED_PAD src0_sel:BYTE_0 src1_sel:DWORD
	v_lshrrev_b32_e32 v71, 24, v18
	v_cmp_ne_u32_e32 vcc, 7, v86
	v_cndmask_b32_e32 v71, 6, v71, vcc
	v_lshrrev_b32_e32 v72, 16, v18
	v_cmp_ne_u32_e32 vcc, 6, v86
	v_lshlrev_b16_e32 v71, 8, v71
	v_cndmask_b32_e32 v72, 6, v72, vcc
	v_and_b32_e32 v87, 64, v27
	v_or_b32_sdwa v71, v72, v71 dst_sel:WORD_1 dst_unused:UNUSED_PAD src0_sel:BYTE_0 src1_sel:DWORD
	v_or_b32_sdwa v70, v70, v71 dst_sel:DWORD dst_unused:UNUSED_PAD src0_sel:WORD_0 src1_sel:DWORD
	v_cmp_eq_u32_e32 vcc, 0, v87
	v_cndmask_b32_e32 v17, v23, v17, vcc
	v_cndmask_b32_e32 v18, v70, v18, vcc
	;; [unrolled: 1-line block ×6, first 2 shown]
	v_cmp_ne_u32_e32 vcc, 0, v84
	v_cndmask_b32_e32 v23, 7, v17, vcc
	v_lshrrev_b32_e32 v24, 8, v17
	v_cmp_ne_u32_e32 vcc, 1, v84
	v_cndmask_b32_e32 v24, 7, v24, vcc
	v_lshlrev_b16_e32 v24, 8, v24
	v_or_b32_sdwa v23, v23, v24 dst_sel:DWORD dst_unused:UNUSED_PAD src0_sel:BYTE_0 src1_sel:DWORD
	v_lshrrev_b32_e32 v24, 24, v17
	v_cmp_ne_u32_e32 vcc, 3, v84
	v_cndmask_b32_e32 v24, 7, v24, vcc
	v_lshrrev_b32_e32 v25, 16, v17
	v_cmp_ne_u32_e32 vcc, 2, v84
	v_lshlrev_b16_e32 v24, 8, v24
	v_cndmask_b32_e32 v25, 7, v25, vcc
	v_or_b32_sdwa v24, v25, v24 dst_sel:WORD_1 dst_unused:UNUSED_PAD src0_sel:BYTE_0 src1_sel:DWORD
	v_cmp_ne_u32_e32 vcc, 20, v84
	v_or_b32_sdwa v23, v23, v24 dst_sel:DWORD dst_unused:UNUSED_PAD src0_sel:WORD_0 src1_sel:DWORD
	v_cndmask_b32_e32 v24, 7, v22, vcc
	v_lshrrev_b32_e32 v25, 8, v22
	v_cmp_ne_u32_e32 vcc, 21, v84
	v_cndmask_b32_e32 v25, 7, v25, vcc
	v_lshlrev_b16_e32 v25, 8, v25
	v_or_b32_sdwa v24, v24, v25 dst_sel:DWORD dst_unused:UNUSED_PAD src0_sel:BYTE_0 src1_sel:DWORD
	v_lshrrev_b32_e32 v25, 24, v22
	v_cmp_ne_u32_e32 vcc, 23, v84
	v_cndmask_b32_e32 v25, 7, v25, vcc
	v_lshrrev_b32_e32 v66, 16, v22
	v_cmp_ne_u32_e32 vcc, 22, v84
	v_lshlrev_b16_e32 v25, 8, v25
	v_cndmask_b32_e32 v66, 7, v66, vcc
	v_or_b32_sdwa v25, v66, v25 dst_sel:WORD_1 dst_unused:UNUSED_PAD src0_sel:BYTE_0 src1_sel:DWORD
	v_cmp_ne_u32_e32 vcc, 16, v84
	v_or_b32_sdwa v24, v24, v25 dst_sel:DWORD dst_unused:UNUSED_PAD src0_sel:WORD_0 src1_sel:DWORD
	;; [unrolled: 16-line block ×5, first 2 shown]
	v_cndmask_b32_e32 v70, 7, v18, vcc
	v_lshrrev_b32_e32 v71, 8, v18
	v_cmp_ne_u32_e32 vcc, 5, v84
	v_cndmask_b32_e32 v71, 7, v71, vcc
	v_lshlrev_b16_e32 v71, 8, v71
	v_or_b32_sdwa v70, v70, v71 dst_sel:DWORD dst_unused:UNUSED_PAD src0_sel:BYTE_0 src1_sel:DWORD
	v_lshrrev_b32_e32 v71, 24, v18
	v_cmp_ne_u32_e32 vcc, 7, v84
	v_cndmask_b32_e32 v71, 7, v71, vcc
	v_lshrrev_b32_e32 v72, 16, v18
	v_cmp_ne_u32_e32 vcc, 6, v84
	v_lshlrev_b16_e32 v71, 8, v71
	v_cndmask_b32_e32 v72, 7, v72, vcc
	v_and_b32_e32 v85, 0x80, v27
	v_or_b32_sdwa v71, v72, v71 dst_sel:WORD_1 dst_unused:UNUSED_PAD src0_sel:BYTE_0 src1_sel:DWORD
	v_or_b32_sdwa v70, v70, v71 dst_sel:DWORD dst_unused:UNUSED_PAD src0_sel:WORD_0 src1_sel:DWORD
	v_cmp_eq_u32_e32 vcc, 0, v85
	v_cndmask_b32_e32 v17, v23, v17, vcc
	v_cndmask_b32_e32 v18, v70, v18, vcc
	;; [unrolled: 1-line block ×6, first 2 shown]
	v_cmp_ne_u32_e32 vcc, 0, v68
	v_cndmask_b32_e32 v23, 8, v17, vcc
	v_lshrrev_b32_e32 v24, 8, v17
	v_cmp_ne_u32_e32 vcc, 1, v68
	v_cndmask_b32_e32 v24, 8, v24, vcc
	v_lshlrev_b16_e32 v24, 8, v24
	v_or_b32_sdwa v23, v23, v24 dst_sel:DWORD dst_unused:UNUSED_PAD src0_sel:BYTE_0 src1_sel:DWORD
	v_lshrrev_b32_e32 v24, 24, v17
	v_cmp_ne_u32_e32 vcc, 3, v68
	v_cndmask_b32_e32 v24, 8, v24, vcc
	v_lshrrev_b32_e32 v25, 16, v17
	v_cmp_ne_u32_e32 vcc, 2, v68
	v_lshlrev_b16_e32 v24, 8, v24
	v_cndmask_b32_e32 v25, 8, v25, vcc
	v_or_b32_sdwa v24, v25, v24 dst_sel:WORD_1 dst_unused:UNUSED_PAD src0_sel:BYTE_0 src1_sel:DWORD
	v_cmp_ne_u32_e32 vcc, 20, v68
	v_or_b32_sdwa v23, v23, v24 dst_sel:DWORD dst_unused:UNUSED_PAD src0_sel:WORD_0 src1_sel:DWORD
	v_cndmask_b32_e32 v24, 8, v22, vcc
	v_lshrrev_b32_e32 v25, 8, v22
	v_cmp_ne_u32_e32 vcc, 21, v68
	v_cndmask_b32_e32 v25, 8, v25, vcc
	v_lshlrev_b16_e32 v25, 8, v25
	v_or_b32_sdwa v24, v24, v25 dst_sel:DWORD dst_unused:UNUSED_PAD src0_sel:BYTE_0 src1_sel:DWORD
	v_lshrrev_b32_e32 v25, 24, v22
	v_cmp_ne_u32_e32 vcc, 23, v68
	v_cndmask_b32_e32 v25, 8, v25, vcc
	v_lshrrev_b32_e32 v66, 16, v22
	v_cmp_ne_u32_e32 vcc, 22, v68
	v_lshlrev_b16_e32 v25, 8, v25
	v_cndmask_b32_e32 v66, 8, v66, vcc
	v_or_b32_sdwa v25, v66, v25 dst_sel:WORD_1 dst_unused:UNUSED_PAD src0_sel:BYTE_0 src1_sel:DWORD
	v_cmp_ne_u32_e32 vcc, 16, v68
	v_or_b32_sdwa v24, v24, v25 dst_sel:DWORD dst_unused:UNUSED_PAD src0_sel:WORD_0 src1_sel:DWORD
	;; [unrolled: 16-line block ×5, first 2 shown]
	v_cndmask_b32_e32 v70, 8, v18, vcc
	v_lshrrev_b32_e32 v71, 8, v18
	v_cmp_ne_u32_e32 vcc, 5, v68
	v_cndmask_b32_e32 v71, 8, v71, vcc
	v_lshlrev_b16_e32 v71, 8, v71
	v_or_b32_sdwa v70, v70, v71 dst_sel:DWORD dst_unused:UNUSED_PAD src0_sel:BYTE_0 src1_sel:DWORD
	v_lshrrev_b32_e32 v71, 24, v18
	v_cmp_ne_u32_e32 vcc, 7, v68
	v_cndmask_b32_e32 v71, 8, v71, vcc
	v_lshrrev_b32_e32 v72, 16, v18
	v_cmp_ne_u32_e32 vcc, 6, v68
	v_lshlrev_b16_e32 v71, 8, v71
	v_cndmask_b32_e32 v68, 8, v72, vcc
	v_and_b32_e32 v77, 0x100, v27
	v_or_b32_sdwa v68, v68, v71 dst_sel:WORD_1 dst_unused:UNUSED_PAD src0_sel:BYTE_0 src1_sel:DWORD
	v_or_b32_sdwa v68, v70, v68 dst_sel:DWORD dst_unused:UNUSED_PAD src0_sel:WORD_0 src1_sel:DWORD
	v_cmp_eq_u32_e32 vcc, 0, v77
	v_cndmask_b32_e32 v17, v23, v17, vcc
	v_cndmask_b32_e32 v18, v68, v18, vcc
	;; [unrolled: 1-line block ×6, first 2 shown]
	v_cmp_ne_u32_e32 vcc, 0, v64
	v_cndmask_b32_e32 v23, 9, v17, vcc
	v_lshrrev_b32_e32 v24, 8, v17
	v_cmp_ne_u32_e32 vcc, 1, v64
	v_cndmask_b32_e32 v24, 9, v24, vcc
	v_lshlrev_b16_e32 v24, 8, v24
	v_or_b32_sdwa v23, v23, v24 dst_sel:DWORD dst_unused:UNUSED_PAD src0_sel:BYTE_0 src1_sel:DWORD
	v_lshrrev_b32_e32 v24, 24, v17
	v_cmp_ne_u32_e32 vcc, 3, v64
	v_cndmask_b32_e32 v24, 9, v24, vcc
	v_lshrrev_b32_e32 v25, 16, v17
	v_cmp_ne_u32_e32 vcc, 2, v64
	v_lshlrev_b16_e32 v24, 8, v24
	v_cndmask_b32_e32 v25, 9, v25, vcc
	v_or_b32_sdwa v24, v25, v24 dst_sel:WORD_1 dst_unused:UNUSED_PAD src0_sel:BYTE_0 src1_sel:DWORD
	v_cmp_ne_u32_e32 vcc, 20, v64
	v_or_b32_sdwa v23, v23, v24 dst_sel:DWORD dst_unused:UNUSED_PAD src0_sel:WORD_0 src1_sel:DWORD
	v_cndmask_b32_e32 v24, 9, v22, vcc
	v_lshrrev_b32_e32 v25, 8, v22
	v_cmp_ne_u32_e32 vcc, 21, v64
	v_cndmask_b32_e32 v25, 9, v25, vcc
	v_lshlrev_b16_e32 v25, 8, v25
	v_or_b32_sdwa v24, v24, v25 dst_sel:DWORD dst_unused:UNUSED_PAD src0_sel:BYTE_0 src1_sel:DWORD
	v_lshrrev_b32_e32 v25, 24, v22
	v_cmp_ne_u32_e32 vcc, 23, v64
	v_cndmask_b32_e32 v25, 9, v25, vcc
	v_lshrrev_b32_e32 v66, 16, v22
	v_cmp_ne_u32_e32 vcc, 22, v64
	v_lshlrev_b16_e32 v25, 8, v25
	v_cndmask_b32_e32 v66, 9, v66, vcc
	v_or_b32_sdwa v25, v66, v25 dst_sel:WORD_1 dst_unused:UNUSED_PAD src0_sel:BYTE_0 src1_sel:DWORD
	v_cmp_ne_u32_e32 vcc, 16, v64
	v_or_b32_sdwa v24, v24, v25 dst_sel:DWORD dst_unused:UNUSED_PAD src0_sel:WORD_0 src1_sel:DWORD
	;; [unrolled: 16-line block ×5, first 2 shown]
	v_cndmask_b32_e32 v69, 9, v18, vcc
	v_lshrrev_b32_e32 v70, 8, v18
	v_cmp_ne_u32_e32 vcc, 5, v64
	v_cndmask_b32_e32 v70, 9, v70, vcc
	v_lshlrev_b16_e32 v70, 8, v70
	v_or_b32_sdwa v69, v69, v70 dst_sel:DWORD dst_unused:UNUSED_PAD src0_sel:BYTE_0 src1_sel:DWORD
	v_lshrrev_b32_e32 v70, 24, v18
	v_cmp_ne_u32_e32 vcc, 7, v64
	v_cndmask_b32_e32 v70, 9, v70, vcc
	v_lshrrev_b32_e32 v71, 16, v18
	v_cmp_ne_u32_e32 vcc, 6, v64
	v_lshlrev_b16_e32 v70, 8, v70
	v_cndmask_b32_e32 v64, 9, v71, vcc
	v_and_b32_e32 v65, 0x200, v27
	v_or_b32_sdwa v64, v64, v70 dst_sel:WORD_1 dst_unused:UNUSED_PAD src0_sel:BYTE_0 src1_sel:DWORD
	v_or_b32_sdwa v64, v69, v64 dst_sel:DWORD dst_unused:UNUSED_PAD src0_sel:WORD_0 src1_sel:DWORD
	v_cmp_eq_u32_e32 vcc, 0, v65
	v_cndmask_b32_e32 v17, v23, v17, vcc
	v_cndmask_b32_e32 v18, v64, v18, vcc
	;; [unrolled: 1-line block ×6, first 2 shown]
	v_cmp_ne_u32_e32 vcc, 0, v62
	v_cndmask_b32_e32 v23, 10, v17, vcc
	v_lshrrev_b32_e32 v24, 8, v17
	v_cmp_ne_u32_e32 vcc, 1, v62
	v_cndmask_b32_e32 v24, 10, v24, vcc
	v_lshlrev_b16_e32 v24, 8, v24
	v_or_b32_sdwa v23, v23, v24 dst_sel:DWORD dst_unused:UNUSED_PAD src0_sel:BYTE_0 src1_sel:DWORD
	v_lshrrev_b32_e32 v24, 24, v17
	v_cmp_ne_u32_e32 vcc, 3, v62
	v_cndmask_b32_e32 v24, 10, v24, vcc
	v_lshrrev_b32_e32 v25, 16, v17
	v_cmp_ne_u32_e32 vcc, 2, v62
	v_lshlrev_b16_e32 v24, 8, v24
	v_cndmask_b32_e32 v25, 10, v25, vcc
	v_or_b32_sdwa v24, v25, v24 dst_sel:WORD_1 dst_unused:UNUSED_PAD src0_sel:BYTE_0 src1_sel:DWORD
	v_cmp_ne_u32_e32 vcc, 20, v62
	v_or_b32_sdwa v23, v23, v24 dst_sel:DWORD dst_unused:UNUSED_PAD src0_sel:WORD_0 src1_sel:DWORD
	v_cndmask_b32_e32 v24, 10, v22, vcc
	v_lshrrev_b32_e32 v25, 8, v22
	v_cmp_ne_u32_e32 vcc, 21, v62
	v_cndmask_b32_e32 v25, 10, v25, vcc
	v_lshlrev_b16_e32 v25, 8, v25
	v_or_b32_sdwa v24, v24, v25 dst_sel:DWORD dst_unused:UNUSED_PAD src0_sel:BYTE_0 src1_sel:DWORD
	v_lshrrev_b32_e32 v25, 24, v22
	v_cmp_ne_u32_e32 vcc, 23, v62
	v_cndmask_b32_e32 v25, 10, v25, vcc
	v_lshrrev_b32_e32 v64, 16, v22
	v_cmp_ne_u32_e32 vcc, 22, v62
	v_lshlrev_b16_e32 v25, 8, v25
	v_cndmask_b32_e32 v64, 10, v64, vcc
	v_or_b32_sdwa v25, v64, v25 dst_sel:WORD_1 dst_unused:UNUSED_PAD src0_sel:BYTE_0 src1_sel:DWORD
	v_cmp_ne_u32_e32 vcc, 16, v62
	v_or_b32_sdwa v24, v24, v25 dst_sel:DWORD dst_unused:UNUSED_PAD src0_sel:WORD_0 src1_sel:DWORD
	;; [unrolled: 16-line block ×5, first 2 shown]
	v_cndmask_b32_e32 v66, 10, v18, vcc
	v_lshrrev_b32_e32 v68, 8, v18
	v_cmp_ne_u32_e32 vcc, 5, v62
	v_cndmask_b32_e32 v68, 10, v68, vcc
	v_lshlrev_b16_e32 v68, 8, v68
	v_or_b32_sdwa v66, v66, v68 dst_sel:DWORD dst_unused:UNUSED_PAD src0_sel:BYTE_0 src1_sel:DWORD
	v_lshrrev_b32_e32 v68, 24, v18
	v_cmp_ne_u32_e32 vcc, 7, v62
	v_cndmask_b32_e32 v68, 10, v68, vcc
	v_lshrrev_b32_e32 v69, 16, v18
	v_cmp_ne_u32_e32 vcc, 6, v62
	v_lshlrev_b16_e32 v68, 8, v68
	v_cndmask_b32_e32 v62, 10, v69, vcc
	v_and_b32_e32 v63, 0x400, v27
	v_or_b32_sdwa v62, v62, v68 dst_sel:WORD_1 dst_unused:UNUSED_PAD src0_sel:BYTE_0 src1_sel:DWORD
	v_or_b32_sdwa v62, v66, v62 dst_sel:DWORD dst_unused:UNUSED_PAD src0_sel:WORD_0 src1_sel:DWORD
	v_cmp_eq_u32_e32 vcc, 0, v63
	v_cndmask_b32_e32 v17, v23, v17, vcc
	v_cndmask_b32_e32 v18, v62, v18, vcc
	;; [unrolled: 1-line block ×6, first 2 shown]
	v_cmp_ne_u32_e32 vcc, 0, v60
	v_cndmask_b32_e32 v23, 11, v17, vcc
	v_lshrrev_b32_e32 v24, 8, v17
	v_cmp_ne_u32_e32 vcc, 1, v60
	v_cndmask_b32_e32 v24, 11, v24, vcc
	v_lshlrev_b16_e32 v24, 8, v24
	v_or_b32_sdwa v23, v23, v24 dst_sel:DWORD dst_unused:UNUSED_PAD src0_sel:BYTE_0 src1_sel:DWORD
	v_lshrrev_b32_e32 v24, 24, v17
	v_cmp_ne_u32_e32 vcc, 3, v60
	v_cndmask_b32_e32 v24, 11, v24, vcc
	v_lshrrev_b32_e32 v25, 16, v17
	v_cmp_ne_u32_e32 vcc, 2, v60
	v_lshlrev_b16_e32 v24, 8, v24
	v_cndmask_b32_e32 v25, 11, v25, vcc
	v_or_b32_sdwa v24, v25, v24 dst_sel:WORD_1 dst_unused:UNUSED_PAD src0_sel:BYTE_0 src1_sel:DWORD
	v_cmp_ne_u32_e32 vcc, 20, v60
	v_or_b32_sdwa v23, v23, v24 dst_sel:DWORD dst_unused:UNUSED_PAD src0_sel:WORD_0 src1_sel:DWORD
	v_cndmask_b32_e32 v24, 11, v22, vcc
	v_lshrrev_b32_e32 v25, 8, v22
	v_cmp_ne_u32_e32 vcc, 21, v60
	v_cndmask_b32_e32 v25, 11, v25, vcc
	v_lshlrev_b16_e32 v25, 8, v25
	v_or_b32_sdwa v24, v24, v25 dst_sel:DWORD dst_unused:UNUSED_PAD src0_sel:BYTE_0 src1_sel:DWORD
	v_lshrrev_b32_e32 v25, 24, v22
	v_cmp_ne_u32_e32 vcc, 23, v60
	v_cndmask_b32_e32 v25, 11, v25, vcc
	v_lshrrev_b32_e32 v62, 16, v22
	v_cmp_ne_u32_e32 vcc, 22, v60
	v_lshlrev_b16_e32 v25, 8, v25
	v_cndmask_b32_e32 v62, 11, v62, vcc
	v_or_b32_sdwa v25, v62, v25 dst_sel:WORD_1 dst_unused:UNUSED_PAD src0_sel:BYTE_0 src1_sel:DWORD
	v_cmp_ne_u32_e32 vcc, 16, v60
	v_or_b32_sdwa v24, v24, v25 dst_sel:DWORD dst_unused:UNUSED_PAD src0_sel:WORD_0 src1_sel:DWORD
	;; [unrolled: 16-line block ×5, first 2 shown]
	v_cndmask_b32_e32 v64, 11, v18, vcc
	v_lshrrev_b32_e32 v65, 8, v18
	v_cmp_ne_u32_e32 vcc, 5, v60
	v_cndmask_b32_e32 v65, 11, v65, vcc
	v_lshlrev_b16_e32 v65, 8, v65
	v_or_b32_sdwa v64, v64, v65 dst_sel:DWORD dst_unused:UNUSED_PAD src0_sel:BYTE_0 src1_sel:DWORD
	v_lshrrev_b32_e32 v65, 24, v18
	v_cmp_ne_u32_e32 vcc, 7, v60
	v_cndmask_b32_e32 v65, 11, v65, vcc
	v_lshrrev_b32_e32 v66, 16, v18
	v_cmp_ne_u32_e32 vcc, 6, v60
	v_lshlrev_b16_e32 v65, 8, v65
	v_cndmask_b32_e32 v60, 11, v66, vcc
	v_and_b32_e32 v61, 0x800, v27
	v_or_b32_sdwa v60, v60, v65 dst_sel:WORD_1 dst_unused:UNUSED_PAD src0_sel:BYTE_0 src1_sel:DWORD
	v_or_b32_sdwa v60, v64, v60 dst_sel:DWORD dst_unused:UNUSED_PAD src0_sel:WORD_0 src1_sel:DWORD
	v_cmp_eq_u32_e32 vcc, 0, v61
	v_cndmask_b32_e32 v17, v23, v17, vcc
	v_cndmask_b32_e32 v18, v60, v18, vcc
	;; [unrolled: 1-line block ×6, first 2 shown]
	v_cmp_ne_u32_e32 vcc, 0, v58
	v_cndmask_b32_e32 v23, 12, v17, vcc
	v_lshrrev_b32_e32 v24, 8, v17
	v_cmp_ne_u32_e32 vcc, 1, v58
	v_cndmask_b32_e32 v24, 12, v24, vcc
	v_lshlrev_b16_e32 v24, 8, v24
	v_or_b32_sdwa v23, v23, v24 dst_sel:DWORD dst_unused:UNUSED_PAD src0_sel:BYTE_0 src1_sel:DWORD
	v_lshrrev_b32_e32 v24, 24, v17
	v_cmp_ne_u32_e32 vcc, 3, v58
	v_cndmask_b32_e32 v24, 12, v24, vcc
	v_lshrrev_b32_e32 v25, 16, v17
	v_cmp_ne_u32_e32 vcc, 2, v58
	v_lshlrev_b16_e32 v24, 8, v24
	v_cndmask_b32_e32 v25, 12, v25, vcc
	v_or_b32_sdwa v24, v25, v24 dst_sel:WORD_1 dst_unused:UNUSED_PAD src0_sel:BYTE_0 src1_sel:DWORD
	v_cmp_ne_u32_e32 vcc, 20, v58
	v_or_b32_sdwa v23, v23, v24 dst_sel:DWORD dst_unused:UNUSED_PAD src0_sel:WORD_0 src1_sel:DWORD
	v_cndmask_b32_e32 v24, 12, v22, vcc
	v_lshrrev_b32_e32 v25, 8, v22
	v_cmp_ne_u32_e32 vcc, 21, v58
	v_cndmask_b32_e32 v25, 12, v25, vcc
	v_lshlrev_b16_e32 v25, 8, v25
	v_or_b32_sdwa v24, v24, v25 dst_sel:DWORD dst_unused:UNUSED_PAD src0_sel:BYTE_0 src1_sel:DWORD
	v_lshrrev_b32_e32 v25, 24, v22
	v_cmp_ne_u32_e32 vcc, 23, v58
	v_cndmask_b32_e32 v25, 12, v25, vcc
	v_lshrrev_b32_e32 v60, 16, v22
	v_cmp_ne_u32_e32 vcc, 22, v58
	v_lshlrev_b16_e32 v25, 8, v25
	v_cndmask_b32_e32 v60, 12, v60, vcc
	v_or_b32_sdwa v25, v60, v25 dst_sel:WORD_1 dst_unused:UNUSED_PAD src0_sel:BYTE_0 src1_sel:DWORD
	v_cmp_ne_u32_e32 vcc, 16, v58
	v_or_b32_sdwa v24, v24, v25 dst_sel:DWORD dst_unused:UNUSED_PAD src0_sel:WORD_0 src1_sel:DWORD
	;; [unrolled: 16-line block ×5, first 2 shown]
	v_cndmask_b32_e32 v62, 12, v18, vcc
	v_lshrrev_b32_e32 v63, 8, v18
	v_cmp_ne_u32_e32 vcc, 5, v58
	v_cndmask_b32_e32 v63, 12, v63, vcc
	v_lshlrev_b16_e32 v63, 8, v63
	v_or_b32_sdwa v62, v62, v63 dst_sel:DWORD dst_unused:UNUSED_PAD src0_sel:BYTE_0 src1_sel:DWORD
	v_lshrrev_b32_e32 v63, 24, v18
	v_cmp_ne_u32_e32 vcc, 7, v58
	v_cndmask_b32_e32 v63, 12, v63, vcc
	v_lshrrev_b32_e32 v64, 16, v18
	v_cmp_ne_u32_e32 vcc, 6, v58
	v_lshlrev_b16_e32 v63, 8, v63
	v_cndmask_b32_e32 v58, 12, v64, vcc
	v_and_b32_e32 v59, 0x1000, v27
	v_or_b32_sdwa v58, v58, v63 dst_sel:WORD_1 dst_unused:UNUSED_PAD src0_sel:BYTE_0 src1_sel:DWORD
	v_or_b32_sdwa v58, v62, v58 dst_sel:DWORD dst_unused:UNUSED_PAD src0_sel:WORD_0 src1_sel:DWORD
	v_cmp_eq_u32_e32 vcc, 0, v59
	v_cndmask_b32_e32 v17, v23, v17, vcc
	v_cndmask_b32_e32 v18, v58, v18, vcc
	v_cndmask_b32_e32 v19, v61, v19, vcc
	v_cndmask_b32_e32 v20, v60, v20, vcc
	v_cndmask_b32_e32 v21, v25, v21, vcc
	v_cndmask_b32_e32 v22, v24, v22, vcc
	v_cmp_ne_u32_e32 vcc, 0, v56
	v_cndmask_b32_e32 v23, 13, v17, vcc
	v_lshrrev_b32_e32 v24, 8, v17
	v_cmp_ne_u32_e32 vcc, 1, v56
	v_cndmask_b32_e32 v24, 13, v24, vcc
	v_lshlrev_b16_e32 v24, 8, v24
	v_or_b32_sdwa v23, v23, v24 dst_sel:DWORD dst_unused:UNUSED_PAD src0_sel:BYTE_0 src1_sel:DWORD
	v_lshrrev_b32_e32 v24, 24, v17
	v_cmp_ne_u32_e32 vcc, 3, v56
	v_cndmask_b32_e32 v24, 13, v24, vcc
	v_lshrrev_b32_e32 v25, 16, v17
	v_cmp_ne_u32_e32 vcc, 2, v56
	v_lshlrev_b16_e32 v24, 8, v24
	v_cndmask_b32_e32 v25, 13, v25, vcc
	v_or_b32_sdwa v24, v25, v24 dst_sel:WORD_1 dst_unused:UNUSED_PAD src0_sel:BYTE_0 src1_sel:DWORD
	v_cmp_ne_u32_e32 vcc, 20, v56
	v_or_b32_sdwa v23, v23, v24 dst_sel:DWORD dst_unused:UNUSED_PAD src0_sel:WORD_0 src1_sel:DWORD
	v_cndmask_b32_e32 v24, 13, v22, vcc
	v_lshrrev_b32_e32 v25, 8, v22
	v_cmp_ne_u32_e32 vcc, 21, v56
	v_cndmask_b32_e32 v25, 13, v25, vcc
	v_lshlrev_b16_e32 v25, 8, v25
	v_or_b32_sdwa v24, v24, v25 dst_sel:DWORD dst_unused:UNUSED_PAD src0_sel:BYTE_0 src1_sel:DWORD
	v_lshrrev_b32_e32 v25, 24, v22
	v_cmp_ne_u32_e32 vcc, 23, v56
	v_cndmask_b32_e32 v25, 13, v25, vcc
	v_lshrrev_b32_e32 v58, 16, v22
	v_cmp_ne_u32_e32 vcc, 22, v56
	v_lshlrev_b16_e32 v25, 8, v25
	v_cndmask_b32_e32 v58, 13, v58, vcc
	v_or_b32_sdwa v25, v58, v25 dst_sel:WORD_1 dst_unused:UNUSED_PAD src0_sel:BYTE_0 src1_sel:DWORD
	v_cmp_ne_u32_e32 vcc, 16, v56
	v_or_b32_sdwa v24, v24, v25 dst_sel:DWORD dst_unused:UNUSED_PAD src0_sel:WORD_0 src1_sel:DWORD
	;; [unrolled: 16-line block ×5, first 2 shown]
	v_cndmask_b32_e32 v60, 13, v18, vcc
	v_lshrrev_b32_e32 v61, 8, v18
	v_cmp_ne_u32_e32 vcc, 5, v56
	v_cndmask_b32_e32 v61, 13, v61, vcc
	v_lshlrev_b16_e32 v61, 8, v61
	v_or_b32_sdwa v60, v60, v61 dst_sel:DWORD dst_unused:UNUSED_PAD src0_sel:BYTE_0 src1_sel:DWORD
	v_lshrrev_b32_e32 v61, 24, v18
	v_cmp_ne_u32_e32 vcc, 7, v56
	v_cndmask_b32_e32 v61, 13, v61, vcc
	v_lshrrev_b32_e32 v62, 16, v18
	v_cmp_ne_u32_e32 vcc, 6, v56
	v_lshlrev_b16_e32 v61, 8, v61
	v_cndmask_b32_e32 v56, 13, v62, vcc
	v_and_b32_e32 v57, 0x2000, v27
	v_or_b32_sdwa v56, v56, v61 dst_sel:WORD_1 dst_unused:UNUSED_PAD src0_sel:BYTE_0 src1_sel:DWORD
	v_or_b32_sdwa v56, v60, v56 dst_sel:DWORD dst_unused:UNUSED_PAD src0_sel:WORD_0 src1_sel:DWORD
	v_cmp_eq_u32_e32 vcc, 0, v57
	v_cndmask_b32_e32 v17, v23, v17, vcc
	v_cndmask_b32_e32 v18, v56, v18, vcc
	;; [unrolled: 1-line block ×6, first 2 shown]
	v_cmp_ne_u32_e32 vcc, 0, v54
	v_cndmask_b32_e32 v23, 14, v17, vcc
	v_lshrrev_b32_e32 v24, 8, v17
	v_cmp_ne_u32_e32 vcc, 1, v54
	v_cndmask_b32_e32 v24, 14, v24, vcc
	v_lshlrev_b16_e32 v24, 8, v24
	v_or_b32_sdwa v23, v23, v24 dst_sel:DWORD dst_unused:UNUSED_PAD src0_sel:BYTE_0 src1_sel:DWORD
	v_lshrrev_b32_e32 v24, 24, v17
	v_cmp_ne_u32_e32 vcc, 3, v54
	v_cndmask_b32_e32 v24, 14, v24, vcc
	v_lshrrev_b32_e32 v25, 16, v17
	v_cmp_ne_u32_e32 vcc, 2, v54
	v_lshlrev_b16_e32 v24, 8, v24
	v_cndmask_b32_e32 v25, 14, v25, vcc
	v_or_b32_sdwa v24, v25, v24 dst_sel:WORD_1 dst_unused:UNUSED_PAD src0_sel:BYTE_0 src1_sel:DWORD
	v_cmp_ne_u32_e32 vcc, 20, v54
	v_or_b32_sdwa v23, v23, v24 dst_sel:DWORD dst_unused:UNUSED_PAD src0_sel:WORD_0 src1_sel:DWORD
	v_cndmask_b32_e32 v24, 14, v22, vcc
	v_lshrrev_b32_e32 v25, 8, v22
	v_cmp_ne_u32_e32 vcc, 21, v54
	v_cndmask_b32_e32 v25, 14, v25, vcc
	v_lshlrev_b16_e32 v25, 8, v25
	v_or_b32_sdwa v24, v24, v25 dst_sel:DWORD dst_unused:UNUSED_PAD src0_sel:BYTE_0 src1_sel:DWORD
	v_lshrrev_b32_e32 v25, 24, v22
	v_cmp_ne_u32_e32 vcc, 23, v54
	v_cndmask_b32_e32 v25, 14, v25, vcc
	v_lshrrev_b32_e32 v56, 16, v22
	v_cmp_ne_u32_e32 vcc, 22, v54
	v_lshlrev_b16_e32 v25, 8, v25
	v_cndmask_b32_e32 v56, 14, v56, vcc
	v_or_b32_sdwa v25, v56, v25 dst_sel:WORD_1 dst_unused:UNUSED_PAD src0_sel:BYTE_0 src1_sel:DWORD
	v_cmp_ne_u32_e32 vcc, 16, v54
	v_or_b32_sdwa v24, v24, v25 dst_sel:DWORD dst_unused:UNUSED_PAD src0_sel:WORD_0 src1_sel:DWORD
	;; [unrolled: 16-line block ×5, first 2 shown]
	v_cndmask_b32_e32 v58, 14, v18, vcc
	v_lshrrev_b32_e32 v59, 8, v18
	v_cmp_ne_u32_e32 vcc, 5, v54
	v_cndmask_b32_e32 v59, 14, v59, vcc
	v_lshlrev_b16_e32 v59, 8, v59
	v_or_b32_sdwa v58, v58, v59 dst_sel:DWORD dst_unused:UNUSED_PAD src0_sel:BYTE_0 src1_sel:DWORD
	v_lshrrev_b32_e32 v59, 24, v18
	v_cmp_ne_u32_e32 vcc, 7, v54
	v_cndmask_b32_e32 v59, 14, v59, vcc
	v_lshrrev_b32_e32 v60, 16, v18
	v_cmp_ne_u32_e32 vcc, 6, v54
	v_lshlrev_b16_e32 v59, 8, v59
	v_cndmask_b32_e32 v54, 14, v60, vcc
	v_and_b32_e32 v55, 0x4000, v27
	v_or_b32_sdwa v54, v54, v59 dst_sel:WORD_1 dst_unused:UNUSED_PAD src0_sel:BYTE_0 src1_sel:DWORD
	v_or_b32_sdwa v54, v58, v54 dst_sel:DWORD dst_unused:UNUSED_PAD src0_sel:WORD_0 src1_sel:DWORD
	v_cmp_eq_u32_e32 vcc, 0, v55
	v_cndmask_b32_e32 v17, v23, v17, vcc
	v_cndmask_b32_e32 v18, v54, v18, vcc
	;; [unrolled: 1-line block ×6, first 2 shown]
	v_cmp_ne_u32_e32 vcc, 0, v52
	v_cndmask_b32_e32 v23, 15, v17, vcc
	v_lshrrev_b32_e32 v24, 8, v17
	v_cmp_ne_u32_e32 vcc, 1, v52
	v_cndmask_b32_e32 v24, 15, v24, vcc
	v_lshlrev_b16_e32 v24, 8, v24
	v_or_b32_sdwa v23, v23, v24 dst_sel:DWORD dst_unused:UNUSED_PAD src0_sel:BYTE_0 src1_sel:DWORD
	v_lshrrev_b32_e32 v24, 24, v17
	v_cmp_ne_u32_e32 vcc, 3, v52
	v_cndmask_b32_e32 v24, 15, v24, vcc
	v_lshrrev_b32_e32 v25, 16, v17
	v_cmp_ne_u32_e32 vcc, 2, v52
	v_lshlrev_b16_e32 v24, 8, v24
	v_cndmask_b32_e32 v25, 15, v25, vcc
	v_or_b32_sdwa v24, v25, v24 dst_sel:WORD_1 dst_unused:UNUSED_PAD src0_sel:BYTE_0 src1_sel:DWORD
	v_cmp_ne_u32_e32 vcc, 20, v52
	v_or_b32_sdwa v23, v23, v24 dst_sel:DWORD dst_unused:UNUSED_PAD src0_sel:WORD_0 src1_sel:DWORD
	v_cndmask_b32_e32 v24, 15, v22, vcc
	v_lshrrev_b32_e32 v25, 8, v22
	v_cmp_ne_u32_e32 vcc, 21, v52
	v_cndmask_b32_e32 v25, 15, v25, vcc
	v_lshlrev_b16_e32 v25, 8, v25
	v_or_b32_sdwa v24, v24, v25 dst_sel:DWORD dst_unused:UNUSED_PAD src0_sel:BYTE_0 src1_sel:DWORD
	v_lshrrev_b32_e32 v25, 24, v22
	v_cmp_ne_u32_e32 vcc, 23, v52
	v_cndmask_b32_e32 v25, 15, v25, vcc
	v_lshrrev_b32_e32 v54, 16, v22
	v_cmp_ne_u32_e32 vcc, 22, v52
	v_lshlrev_b16_e32 v25, 8, v25
	v_cndmask_b32_e32 v54, 15, v54, vcc
	v_or_b32_sdwa v25, v54, v25 dst_sel:WORD_1 dst_unused:UNUSED_PAD src0_sel:BYTE_0 src1_sel:DWORD
	v_cmp_ne_u32_e32 vcc, 16, v52
	v_or_b32_sdwa v24, v24, v25 dst_sel:DWORD dst_unused:UNUSED_PAD src0_sel:WORD_0 src1_sel:DWORD
	;; [unrolled: 16-line block ×5, first 2 shown]
	v_cndmask_b32_e32 v56, 15, v18, vcc
	v_lshrrev_b32_e32 v57, 8, v18
	v_cmp_ne_u32_e32 vcc, 5, v52
	v_cndmask_b32_e32 v57, 15, v57, vcc
	v_lshlrev_b16_e32 v57, 8, v57
	v_or_b32_sdwa v56, v56, v57 dst_sel:DWORD dst_unused:UNUSED_PAD src0_sel:BYTE_0 src1_sel:DWORD
	v_lshrrev_b32_e32 v57, 24, v18
	v_cmp_ne_u32_e32 vcc, 7, v52
	v_cndmask_b32_e32 v57, 15, v57, vcc
	v_lshrrev_b32_e32 v58, 16, v18
	v_cmp_ne_u32_e32 vcc, 6, v52
	v_lshlrev_b16_e32 v57, 8, v57
	v_cndmask_b32_e32 v52, 15, v58, vcc
	v_and_b32_e32 v53, 0x8000, v27
	v_or_b32_sdwa v52, v52, v57 dst_sel:WORD_1 dst_unused:UNUSED_PAD src0_sel:BYTE_0 src1_sel:DWORD
	v_or_b32_sdwa v52, v56, v52 dst_sel:DWORD dst_unused:UNUSED_PAD src0_sel:WORD_0 src1_sel:DWORD
	v_cmp_eq_u32_e32 vcc, 0, v53
	v_cndmask_b32_e32 v17, v23, v17, vcc
	v_cndmask_b32_e32 v18, v52, v18, vcc
	;; [unrolled: 1-line block ×6, first 2 shown]
	v_cmp_ne_u32_e32 vcc, 0, v50
	v_cndmask_b32_e32 v23, 16, v17, vcc
	v_lshrrev_b32_e32 v24, 8, v17
	v_cmp_ne_u32_e32 vcc, 1, v50
	v_cndmask_b32_e32 v24, 16, v24, vcc
	v_lshlrev_b16_e32 v24, 8, v24
	v_or_b32_sdwa v23, v23, v24 dst_sel:DWORD dst_unused:UNUSED_PAD src0_sel:BYTE_0 src1_sel:DWORD
	v_lshrrev_b32_e32 v24, 24, v17
	v_cmp_ne_u32_e32 vcc, 3, v50
	v_cndmask_b32_e32 v24, 16, v24, vcc
	v_lshrrev_b32_e32 v25, 16, v17
	v_cmp_ne_u32_e32 vcc, 2, v50
	v_lshlrev_b16_e32 v24, 8, v24
	v_cndmask_b32_e32 v25, 16, v25, vcc
	v_or_b32_sdwa v24, v25, v24 dst_sel:WORD_1 dst_unused:UNUSED_PAD src0_sel:BYTE_0 src1_sel:DWORD
	v_cmp_ne_u32_e32 vcc, 20, v50
	v_or_b32_sdwa v23, v23, v24 dst_sel:DWORD dst_unused:UNUSED_PAD src0_sel:WORD_0 src1_sel:DWORD
	v_cndmask_b32_e32 v24, 16, v22, vcc
	v_lshrrev_b32_e32 v25, 8, v22
	v_cmp_ne_u32_e32 vcc, 21, v50
	v_cndmask_b32_e32 v25, 16, v25, vcc
	v_lshlrev_b16_e32 v25, 8, v25
	v_or_b32_sdwa v24, v24, v25 dst_sel:DWORD dst_unused:UNUSED_PAD src0_sel:BYTE_0 src1_sel:DWORD
	v_lshrrev_b32_e32 v25, 24, v22
	v_cmp_ne_u32_e32 vcc, 23, v50
	v_cndmask_b32_e32 v25, 16, v25, vcc
	v_lshrrev_b32_e32 v52, 16, v22
	v_cmp_ne_u32_e32 vcc, 22, v50
	v_lshlrev_b16_e32 v25, 8, v25
	v_cndmask_b32_e32 v52, 16, v52, vcc
	v_or_b32_sdwa v25, v52, v25 dst_sel:WORD_1 dst_unused:UNUSED_PAD src0_sel:BYTE_0 src1_sel:DWORD
	v_cmp_ne_u32_e32 vcc, 16, v50
	v_or_b32_sdwa v24, v24, v25 dst_sel:DWORD dst_unused:UNUSED_PAD src0_sel:WORD_0 src1_sel:DWORD
	;; [unrolled: 16-line block ×5, first 2 shown]
	v_cndmask_b32_e32 v54, 16, v18, vcc
	v_lshrrev_b32_e32 v55, 8, v18
	v_cmp_ne_u32_e32 vcc, 5, v50
	v_cndmask_b32_e32 v55, 16, v55, vcc
	v_lshlrev_b16_e32 v55, 8, v55
	v_or_b32_sdwa v54, v54, v55 dst_sel:DWORD dst_unused:UNUSED_PAD src0_sel:BYTE_0 src1_sel:DWORD
	v_lshrrev_b32_e32 v55, 24, v18
	v_cmp_ne_u32_e32 vcc, 7, v50
	v_cndmask_b32_e32 v55, 16, v55, vcc
	v_lshrrev_b32_e32 v56, 16, v18
	v_cmp_ne_u32_e32 vcc, 6, v50
	v_lshlrev_b16_e32 v55, 8, v55
	v_cndmask_b32_e32 v50, 16, v56, vcc
	v_and_b32_e32 v51, 0x10000, v27
	v_or_b32_sdwa v50, v50, v55 dst_sel:WORD_1 dst_unused:UNUSED_PAD src0_sel:BYTE_0 src1_sel:DWORD
	v_or_b32_sdwa v50, v54, v50 dst_sel:DWORD dst_unused:UNUSED_PAD src0_sel:WORD_0 src1_sel:DWORD
	v_cmp_eq_u32_e32 vcc, 0, v51
	v_cndmask_b32_e32 v17, v23, v17, vcc
	v_cndmask_b32_e32 v18, v50, v18, vcc
	;; [unrolled: 1-line block ×6, first 2 shown]
	v_cmp_ne_u32_e32 vcc, 0, v48
	v_cndmask_b32_e32 v23, 17, v17, vcc
	v_lshrrev_b32_e32 v24, 8, v17
	v_cmp_ne_u32_e32 vcc, 1, v48
	v_cndmask_b32_e32 v24, 17, v24, vcc
	v_lshlrev_b16_e32 v24, 8, v24
	v_or_b32_sdwa v23, v23, v24 dst_sel:DWORD dst_unused:UNUSED_PAD src0_sel:BYTE_0 src1_sel:DWORD
	v_lshrrev_b32_e32 v24, 24, v17
	v_cmp_ne_u32_e32 vcc, 3, v48
	v_cndmask_b32_e32 v24, 17, v24, vcc
	v_lshrrev_b32_e32 v25, 16, v17
	v_cmp_ne_u32_e32 vcc, 2, v48
	v_lshlrev_b16_e32 v24, 8, v24
	v_cndmask_b32_e32 v25, 17, v25, vcc
	v_or_b32_sdwa v24, v25, v24 dst_sel:WORD_1 dst_unused:UNUSED_PAD src0_sel:BYTE_0 src1_sel:DWORD
	v_cmp_ne_u32_e32 vcc, 20, v48
	v_or_b32_sdwa v23, v23, v24 dst_sel:DWORD dst_unused:UNUSED_PAD src0_sel:WORD_0 src1_sel:DWORD
	v_cndmask_b32_e32 v24, 17, v22, vcc
	v_lshrrev_b32_e32 v25, 8, v22
	v_cmp_ne_u32_e32 vcc, 21, v48
	v_cndmask_b32_e32 v25, 17, v25, vcc
	v_lshlrev_b16_e32 v25, 8, v25
	v_or_b32_sdwa v24, v24, v25 dst_sel:DWORD dst_unused:UNUSED_PAD src0_sel:BYTE_0 src1_sel:DWORD
	v_lshrrev_b32_e32 v25, 24, v22
	v_cmp_ne_u32_e32 vcc, 23, v48
	v_cndmask_b32_e32 v25, 17, v25, vcc
	v_lshrrev_b32_e32 v50, 16, v22
	v_cmp_ne_u32_e32 vcc, 22, v48
	v_lshlrev_b16_e32 v25, 8, v25
	v_cndmask_b32_e32 v50, 17, v50, vcc
	v_or_b32_sdwa v25, v50, v25 dst_sel:WORD_1 dst_unused:UNUSED_PAD src0_sel:BYTE_0 src1_sel:DWORD
	v_cmp_ne_u32_e32 vcc, 16, v48
	v_or_b32_sdwa v24, v24, v25 dst_sel:DWORD dst_unused:UNUSED_PAD src0_sel:WORD_0 src1_sel:DWORD
	;; [unrolled: 16-line block ×5, first 2 shown]
	v_cndmask_b32_e32 v52, 17, v18, vcc
	v_lshrrev_b32_e32 v53, 8, v18
	v_cmp_ne_u32_e32 vcc, 5, v48
	v_cndmask_b32_e32 v53, 17, v53, vcc
	v_lshlrev_b16_e32 v53, 8, v53
	v_or_b32_sdwa v52, v52, v53 dst_sel:DWORD dst_unused:UNUSED_PAD src0_sel:BYTE_0 src1_sel:DWORD
	v_lshrrev_b32_e32 v53, 24, v18
	v_cmp_ne_u32_e32 vcc, 7, v48
	v_cndmask_b32_e32 v53, 17, v53, vcc
	v_lshrrev_b32_e32 v54, 16, v18
	v_cmp_ne_u32_e32 vcc, 6, v48
	v_lshlrev_b16_e32 v53, 8, v53
	v_cndmask_b32_e32 v48, 17, v54, vcc
	v_and_b32_e32 v49, 0x20000, v27
	v_or_b32_sdwa v48, v48, v53 dst_sel:WORD_1 dst_unused:UNUSED_PAD src0_sel:BYTE_0 src1_sel:DWORD
	v_or_b32_sdwa v48, v52, v48 dst_sel:DWORD dst_unused:UNUSED_PAD src0_sel:WORD_0 src1_sel:DWORD
	v_cmp_eq_u32_e32 vcc, 0, v49
	v_cndmask_b32_e32 v17, v23, v17, vcc
	v_cndmask_b32_e32 v18, v48, v18, vcc
	;; [unrolled: 1-line block ×6, first 2 shown]
	v_cmp_ne_u32_e32 vcc, 0, v46
	v_cndmask_b32_e32 v23, 18, v17, vcc
	v_lshrrev_b32_e32 v24, 8, v17
	v_cmp_ne_u32_e32 vcc, 1, v46
	v_cndmask_b32_e32 v24, 18, v24, vcc
	v_lshlrev_b16_e32 v24, 8, v24
	v_or_b32_sdwa v23, v23, v24 dst_sel:DWORD dst_unused:UNUSED_PAD src0_sel:BYTE_0 src1_sel:DWORD
	v_lshrrev_b32_e32 v24, 24, v17
	v_cmp_ne_u32_e32 vcc, 3, v46
	v_cndmask_b32_e32 v24, 18, v24, vcc
	v_lshrrev_b32_e32 v25, 16, v17
	v_cmp_ne_u32_e32 vcc, 2, v46
	v_lshlrev_b16_e32 v24, 8, v24
	v_cndmask_b32_e32 v25, 18, v25, vcc
	v_or_b32_sdwa v24, v25, v24 dst_sel:WORD_1 dst_unused:UNUSED_PAD src0_sel:BYTE_0 src1_sel:DWORD
	v_cmp_ne_u32_e32 vcc, 20, v46
	v_or_b32_sdwa v23, v23, v24 dst_sel:DWORD dst_unused:UNUSED_PAD src0_sel:WORD_0 src1_sel:DWORD
	v_cndmask_b32_e32 v24, 18, v22, vcc
	v_lshrrev_b32_e32 v25, 8, v22
	v_cmp_ne_u32_e32 vcc, 21, v46
	v_cndmask_b32_e32 v25, 18, v25, vcc
	v_lshlrev_b16_e32 v25, 8, v25
	v_or_b32_sdwa v24, v24, v25 dst_sel:DWORD dst_unused:UNUSED_PAD src0_sel:BYTE_0 src1_sel:DWORD
	v_lshrrev_b32_e32 v25, 24, v22
	v_cmp_ne_u32_e32 vcc, 23, v46
	v_cndmask_b32_e32 v25, 18, v25, vcc
	v_lshrrev_b32_e32 v48, 16, v22
	v_cmp_ne_u32_e32 vcc, 22, v46
	v_lshlrev_b16_e32 v25, 8, v25
	v_cndmask_b32_e32 v48, 18, v48, vcc
	v_or_b32_sdwa v25, v48, v25 dst_sel:WORD_1 dst_unused:UNUSED_PAD src0_sel:BYTE_0 src1_sel:DWORD
	v_cmp_ne_u32_e32 vcc, 16, v46
	v_or_b32_sdwa v24, v24, v25 dst_sel:DWORD dst_unused:UNUSED_PAD src0_sel:WORD_0 src1_sel:DWORD
	;; [unrolled: 16-line block ×5, first 2 shown]
	v_cndmask_b32_e32 v50, 18, v18, vcc
	v_lshrrev_b32_e32 v51, 8, v18
	v_cmp_ne_u32_e32 vcc, 5, v46
	v_cndmask_b32_e32 v51, 18, v51, vcc
	v_lshlrev_b16_e32 v51, 8, v51
	v_or_b32_sdwa v50, v50, v51 dst_sel:DWORD dst_unused:UNUSED_PAD src0_sel:BYTE_0 src1_sel:DWORD
	v_lshrrev_b32_e32 v51, 24, v18
	v_cmp_ne_u32_e32 vcc, 7, v46
	v_cndmask_b32_e32 v51, 18, v51, vcc
	v_lshrrev_b32_e32 v52, 16, v18
	v_cmp_ne_u32_e32 vcc, 6, v46
	v_lshlrev_b16_e32 v51, 8, v51
	v_cndmask_b32_e32 v46, 18, v52, vcc
	v_and_b32_e32 v47, 0x40000, v27
	v_or_b32_sdwa v46, v46, v51 dst_sel:WORD_1 dst_unused:UNUSED_PAD src0_sel:BYTE_0 src1_sel:DWORD
	v_or_b32_sdwa v46, v50, v46 dst_sel:DWORD dst_unused:UNUSED_PAD src0_sel:WORD_0 src1_sel:DWORD
	v_cmp_eq_u32_e32 vcc, 0, v47
	v_cndmask_b32_e32 v17, v23, v17, vcc
	v_cndmask_b32_e32 v18, v46, v18, vcc
	v_cndmask_b32_e32 v19, v49, v19, vcc
	v_cndmask_b32_e32 v20, v48, v20, vcc
	v_cndmask_b32_e32 v21, v25, v21, vcc
	v_cndmask_b32_e32 v22, v24, v22, vcc
	v_cmp_ne_u32_e32 vcc, 0, v44
	v_cndmask_b32_e32 v23, 19, v17, vcc
	v_lshrrev_b32_e32 v24, 8, v17
	v_cmp_ne_u32_e32 vcc, 1, v44
	v_cndmask_b32_e32 v24, 19, v24, vcc
	v_lshlrev_b16_e32 v24, 8, v24
	v_or_b32_sdwa v23, v23, v24 dst_sel:DWORD dst_unused:UNUSED_PAD src0_sel:BYTE_0 src1_sel:DWORD
	v_lshrrev_b32_e32 v24, 24, v17
	v_cmp_ne_u32_e32 vcc, 3, v44
	v_cndmask_b32_e32 v24, 19, v24, vcc
	v_lshrrev_b32_e32 v25, 16, v17
	v_cmp_ne_u32_e32 vcc, 2, v44
	v_lshlrev_b16_e32 v24, 8, v24
	v_cndmask_b32_e32 v25, 19, v25, vcc
	v_or_b32_sdwa v24, v25, v24 dst_sel:WORD_1 dst_unused:UNUSED_PAD src0_sel:BYTE_0 src1_sel:DWORD
	v_cmp_ne_u32_e32 vcc, 20, v44
	v_or_b32_sdwa v23, v23, v24 dst_sel:DWORD dst_unused:UNUSED_PAD src0_sel:WORD_0 src1_sel:DWORD
	v_cndmask_b32_e32 v24, 19, v22, vcc
	v_lshrrev_b32_e32 v25, 8, v22
	v_cmp_ne_u32_e32 vcc, 21, v44
	v_cndmask_b32_e32 v25, 19, v25, vcc
	v_lshlrev_b16_e32 v25, 8, v25
	v_or_b32_sdwa v24, v24, v25 dst_sel:DWORD dst_unused:UNUSED_PAD src0_sel:BYTE_0 src1_sel:DWORD
	v_lshrrev_b32_e32 v25, 24, v22
	v_cmp_ne_u32_e32 vcc, 23, v44
	v_cndmask_b32_e32 v25, 19, v25, vcc
	v_lshrrev_b32_e32 v46, 16, v22
	v_cmp_ne_u32_e32 vcc, 22, v44
	v_lshlrev_b16_e32 v25, 8, v25
	v_cndmask_b32_e32 v46, 19, v46, vcc
	v_or_b32_sdwa v25, v46, v25 dst_sel:WORD_1 dst_unused:UNUSED_PAD src0_sel:BYTE_0 src1_sel:DWORD
	v_cmp_ne_u32_e32 vcc, 16, v44
	v_or_b32_sdwa v24, v24, v25 dst_sel:DWORD dst_unused:UNUSED_PAD src0_sel:WORD_0 src1_sel:DWORD
	;; [unrolled: 16-line block ×5, first 2 shown]
	v_cndmask_b32_e32 v48, 19, v18, vcc
	v_lshrrev_b32_e32 v49, 8, v18
	v_cmp_ne_u32_e32 vcc, 5, v44
	v_cndmask_b32_e32 v49, 19, v49, vcc
	v_lshlrev_b16_e32 v49, 8, v49
	v_or_b32_sdwa v48, v48, v49 dst_sel:DWORD dst_unused:UNUSED_PAD src0_sel:BYTE_0 src1_sel:DWORD
	v_lshrrev_b32_e32 v49, 24, v18
	v_cmp_ne_u32_e32 vcc, 7, v44
	v_cndmask_b32_e32 v49, 19, v49, vcc
	v_lshrrev_b32_e32 v50, 16, v18
	v_cmp_ne_u32_e32 vcc, 6, v44
	v_lshlrev_b16_e32 v49, 8, v49
	v_cndmask_b32_e32 v44, 19, v50, vcc
	v_and_b32_e32 v45, 0x80000, v27
	v_or_b32_sdwa v44, v44, v49 dst_sel:WORD_1 dst_unused:UNUSED_PAD src0_sel:BYTE_0 src1_sel:DWORD
	v_or_b32_sdwa v44, v48, v44 dst_sel:DWORD dst_unused:UNUSED_PAD src0_sel:WORD_0 src1_sel:DWORD
	v_cmp_eq_u32_e32 vcc, 0, v45
	v_cndmask_b32_e32 v17, v23, v17, vcc
	v_cndmask_b32_e32 v18, v44, v18, vcc
	;; [unrolled: 1-line block ×6, first 2 shown]
	v_cmp_ne_u32_e32 vcc, 0, v42
	v_cndmask_b32_e32 v23, 20, v17, vcc
	v_lshrrev_b32_e32 v24, 8, v17
	v_cmp_ne_u32_e32 vcc, 1, v42
	v_cndmask_b32_e32 v24, 20, v24, vcc
	v_lshlrev_b16_e32 v24, 8, v24
	v_or_b32_sdwa v23, v23, v24 dst_sel:DWORD dst_unused:UNUSED_PAD src0_sel:BYTE_0 src1_sel:DWORD
	v_lshrrev_b32_e32 v24, 24, v17
	v_cmp_ne_u32_e32 vcc, 3, v42
	v_cndmask_b32_e32 v24, 20, v24, vcc
	v_lshrrev_b32_e32 v25, 16, v17
	v_cmp_ne_u32_e32 vcc, 2, v42
	v_lshlrev_b16_e32 v24, 8, v24
	v_cndmask_b32_e32 v25, 20, v25, vcc
	v_or_b32_sdwa v24, v25, v24 dst_sel:WORD_1 dst_unused:UNUSED_PAD src0_sel:BYTE_0 src1_sel:DWORD
	v_cmp_ne_u32_e32 vcc, 20, v42
	v_or_b32_sdwa v23, v23, v24 dst_sel:DWORD dst_unused:UNUSED_PAD src0_sel:WORD_0 src1_sel:DWORD
	v_cndmask_b32_e32 v24, 20, v22, vcc
	v_lshrrev_b32_e32 v25, 8, v22
	v_cmp_ne_u32_e32 vcc, 21, v42
	v_cndmask_b32_e32 v25, 20, v25, vcc
	v_lshlrev_b16_e32 v25, 8, v25
	v_or_b32_sdwa v24, v24, v25 dst_sel:DWORD dst_unused:UNUSED_PAD src0_sel:BYTE_0 src1_sel:DWORD
	v_lshrrev_b32_e32 v25, 24, v22
	v_cmp_ne_u32_e32 vcc, 23, v42
	v_cndmask_b32_e32 v25, 20, v25, vcc
	v_lshrrev_b32_e32 v44, 16, v22
	v_cmp_ne_u32_e32 vcc, 22, v42
	v_lshlrev_b16_e32 v25, 8, v25
	v_cndmask_b32_e32 v44, 20, v44, vcc
	v_or_b32_sdwa v25, v44, v25 dst_sel:WORD_1 dst_unused:UNUSED_PAD src0_sel:BYTE_0 src1_sel:DWORD
	v_cmp_ne_u32_e32 vcc, 16, v42
	v_or_b32_sdwa v24, v24, v25 dst_sel:DWORD dst_unused:UNUSED_PAD src0_sel:WORD_0 src1_sel:DWORD
	;; [unrolled: 16-line block ×5, first 2 shown]
	v_cndmask_b32_e32 v46, 20, v18, vcc
	v_lshrrev_b32_e32 v47, 8, v18
	v_cmp_ne_u32_e32 vcc, 5, v42
	v_cndmask_b32_e32 v47, 20, v47, vcc
	v_lshlrev_b16_e32 v47, 8, v47
	v_or_b32_sdwa v46, v46, v47 dst_sel:DWORD dst_unused:UNUSED_PAD src0_sel:BYTE_0 src1_sel:DWORD
	v_lshrrev_b32_e32 v47, 24, v18
	v_cmp_ne_u32_e32 vcc, 7, v42
	v_cndmask_b32_e32 v47, 20, v47, vcc
	v_lshrrev_b32_e32 v48, 16, v18
	v_cmp_ne_u32_e32 vcc, 6, v42
	v_lshlrev_b16_e32 v47, 8, v47
	v_cndmask_b32_e32 v42, 20, v48, vcc
	v_and_b32_e32 v43, 0x100000, v27
	v_or_b32_sdwa v42, v42, v47 dst_sel:WORD_1 dst_unused:UNUSED_PAD src0_sel:BYTE_0 src1_sel:DWORD
	v_or_b32_sdwa v42, v46, v42 dst_sel:DWORD dst_unused:UNUSED_PAD src0_sel:WORD_0 src1_sel:DWORD
	v_cmp_eq_u32_e32 vcc, 0, v43
	v_cndmask_b32_e32 v17, v23, v17, vcc
	v_cndmask_b32_e32 v18, v42, v18, vcc
	;; [unrolled: 1-line block ×6, first 2 shown]
	v_cmp_ne_u32_e32 vcc, 0, v40
	v_cndmask_b32_e32 v23, 21, v17, vcc
	v_lshrrev_b32_e32 v24, 8, v17
	v_cmp_ne_u32_e32 vcc, 1, v40
	v_cndmask_b32_e32 v24, 21, v24, vcc
	v_lshlrev_b16_e32 v24, 8, v24
	v_or_b32_sdwa v23, v23, v24 dst_sel:DWORD dst_unused:UNUSED_PAD src0_sel:BYTE_0 src1_sel:DWORD
	v_lshrrev_b32_e32 v24, 24, v17
	v_cmp_ne_u32_e32 vcc, 3, v40
	v_cndmask_b32_e32 v24, 21, v24, vcc
	v_lshrrev_b32_e32 v25, 16, v17
	v_cmp_ne_u32_e32 vcc, 2, v40
	v_lshlrev_b16_e32 v24, 8, v24
	v_cndmask_b32_e32 v25, 21, v25, vcc
	v_or_b32_sdwa v24, v25, v24 dst_sel:WORD_1 dst_unused:UNUSED_PAD src0_sel:BYTE_0 src1_sel:DWORD
	v_cmp_ne_u32_e32 vcc, 20, v40
	v_or_b32_sdwa v23, v23, v24 dst_sel:DWORD dst_unused:UNUSED_PAD src0_sel:WORD_0 src1_sel:DWORD
	v_cndmask_b32_e32 v24, 21, v22, vcc
	v_lshrrev_b32_e32 v25, 8, v22
	v_cmp_ne_u32_e32 vcc, 21, v40
	v_cndmask_b32_e32 v25, 21, v25, vcc
	v_lshlrev_b16_e32 v25, 8, v25
	v_or_b32_sdwa v24, v24, v25 dst_sel:DWORD dst_unused:UNUSED_PAD src0_sel:BYTE_0 src1_sel:DWORD
	v_lshrrev_b32_e32 v25, 24, v22
	v_cmp_ne_u32_e32 vcc, 23, v40
	v_cndmask_b32_e32 v25, 21, v25, vcc
	v_lshrrev_b32_e32 v42, 16, v22
	v_cmp_ne_u32_e32 vcc, 22, v40
	v_lshlrev_b16_e32 v25, 8, v25
	v_cndmask_b32_e32 v42, 21, v42, vcc
	v_or_b32_sdwa v25, v42, v25 dst_sel:WORD_1 dst_unused:UNUSED_PAD src0_sel:BYTE_0 src1_sel:DWORD
	v_cmp_ne_u32_e32 vcc, 16, v40
	v_or_b32_sdwa v24, v24, v25 dst_sel:DWORD dst_unused:UNUSED_PAD src0_sel:WORD_0 src1_sel:DWORD
	;; [unrolled: 16-line block ×5, first 2 shown]
	v_cndmask_b32_e32 v44, 21, v18, vcc
	v_lshrrev_b32_e32 v45, 8, v18
	v_cmp_ne_u32_e32 vcc, 5, v40
	v_cndmask_b32_e32 v45, 21, v45, vcc
	v_lshlrev_b16_e32 v45, 8, v45
	v_or_b32_sdwa v44, v44, v45 dst_sel:DWORD dst_unused:UNUSED_PAD src0_sel:BYTE_0 src1_sel:DWORD
	v_lshrrev_b32_e32 v45, 24, v18
	v_cmp_ne_u32_e32 vcc, 7, v40
	v_cndmask_b32_e32 v45, 21, v45, vcc
	v_lshrrev_b32_e32 v46, 16, v18
	v_cmp_ne_u32_e32 vcc, 6, v40
	v_lshlrev_b16_e32 v45, 8, v45
	v_cndmask_b32_e32 v40, 21, v46, vcc
	v_and_b32_e32 v41, 0x200000, v27
	v_or_b32_sdwa v40, v40, v45 dst_sel:WORD_1 dst_unused:UNUSED_PAD src0_sel:BYTE_0 src1_sel:DWORD
	v_or_b32_sdwa v40, v44, v40 dst_sel:DWORD dst_unused:UNUSED_PAD src0_sel:WORD_0 src1_sel:DWORD
	v_cmp_eq_u32_e32 vcc, 0, v41
	v_cndmask_b32_e32 v17, v23, v17, vcc
	v_cndmask_b32_e32 v18, v40, v18, vcc
	;; [unrolled: 1-line block ×6, first 2 shown]
	v_cmp_ne_u32_e32 vcc, 0, v34
	v_cndmask_b32_e32 v23, 22, v17, vcc
	v_lshrrev_b32_e32 v24, 8, v17
	v_cmp_ne_u32_e32 vcc, 1, v34
	v_cndmask_b32_e32 v24, 22, v24, vcc
	v_lshlrev_b16_e32 v24, 8, v24
	v_or_b32_sdwa v23, v23, v24 dst_sel:DWORD dst_unused:UNUSED_PAD src0_sel:BYTE_0 src1_sel:DWORD
	v_lshrrev_b32_e32 v24, 24, v17
	v_cmp_ne_u32_e32 vcc, 3, v34
	v_cndmask_b32_e32 v24, 22, v24, vcc
	v_lshrrev_b32_e32 v25, 16, v17
	v_cmp_ne_u32_e32 vcc, 2, v34
	v_lshlrev_b16_e32 v24, 8, v24
	v_cndmask_b32_e32 v25, 22, v25, vcc
	v_or_b32_sdwa v24, v25, v24 dst_sel:WORD_1 dst_unused:UNUSED_PAD src0_sel:BYTE_0 src1_sel:DWORD
	v_cmp_ne_u32_e32 vcc, 20, v34
	v_or_b32_sdwa v23, v23, v24 dst_sel:DWORD dst_unused:UNUSED_PAD src0_sel:WORD_0 src1_sel:DWORD
	v_cndmask_b32_e32 v24, 22, v22, vcc
	v_lshrrev_b32_e32 v25, 8, v22
	v_cmp_ne_u32_e32 vcc, 21, v34
	v_cndmask_b32_e32 v25, 22, v25, vcc
	v_lshlrev_b16_e32 v25, 8, v25
	v_or_b32_sdwa v24, v24, v25 dst_sel:DWORD dst_unused:UNUSED_PAD src0_sel:BYTE_0 src1_sel:DWORD
	v_lshrrev_b32_e32 v25, 24, v22
	v_cmp_ne_u32_e32 vcc, 23, v34
	v_cndmask_b32_e32 v25, 22, v25, vcc
	v_lshrrev_b32_e32 v40, 16, v22
	v_cmp_ne_u32_e32 vcc, 22, v34
	v_lshlrev_b16_e32 v25, 8, v25
	v_cndmask_b32_e32 v40, 22, v40, vcc
	v_or_b32_sdwa v25, v40, v25 dst_sel:WORD_1 dst_unused:UNUSED_PAD src0_sel:BYTE_0 src1_sel:DWORD
	v_cmp_ne_u32_e32 vcc, 16, v34
	v_or_b32_sdwa v24, v24, v25 dst_sel:DWORD dst_unused:UNUSED_PAD src0_sel:WORD_0 src1_sel:DWORD
	;; [unrolled: 16-line block ×5, first 2 shown]
	v_cndmask_b32_e32 v42, 22, v18, vcc
	v_lshrrev_b32_e32 v43, 8, v18
	v_cmp_ne_u32_e32 vcc, 5, v34
	v_cndmask_b32_e32 v43, 22, v43, vcc
	v_lshlrev_b16_e32 v43, 8, v43
	v_or_b32_sdwa v42, v42, v43 dst_sel:DWORD dst_unused:UNUSED_PAD src0_sel:BYTE_0 src1_sel:DWORD
	v_lshrrev_b32_e32 v43, 24, v18
	v_cmp_ne_u32_e32 vcc, 7, v34
	v_cndmask_b32_e32 v43, 22, v43, vcc
	v_lshrrev_b32_e32 v44, 16, v18
	v_cmp_ne_u32_e32 vcc, 6, v34
	v_lshlrev_b16_e32 v43, 8, v43
	v_cndmask_b32_e32 v34, 22, v44, vcc
	v_and_b32_e32 v35, 0x400000, v27
	v_or_b32_sdwa v34, v34, v43 dst_sel:WORD_1 dst_unused:UNUSED_PAD src0_sel:BYTE_0 src1_sel:DWORD
	v_or_b32_sdwa v34, v42, v34 dst_sel:DWORD dst_unused:UNUSED_PAD src0_sel:WORD_0 src1_sel:DWORD
	v_cmp_eq_u32_e32 vcc, 0, v35
	v_cndmask_b32_e32 v17, v23, v17, vcc
	v_cndmask_b32_e32 v23, v34, v18, vcc
	;; [unrolled: 1-line block ×6, first 2 shown]
	v_cmp_ne_u32_e32 vcc, 0, v26
	v_cndmask_b32_e32 v18, 23, v17, vcc
	v_lshrrev_b32_e32 v19, 8, v17
	v_cmp_ne_u32_e32 vcc, 1, v26
	v_cndmask_b32_e32 v19, 23, v19, vcc
	v_lshlrev_b16_e32 v19, 8, v19
	v_or_b32_sdwa v18, v18, v19 dst_sel:DWORD dst_unused:UNUSED_PAD src0_sel:BYTE_0 src1_sel:DWORD
	v_lshrrev_b32_e32 v19, 24, v17
	v_cmp_ne_u32_e32 vcc, 3, v26
	v_cndmask_b32_e32 v19, 23, v19, vcc
	v_lshrrev_b32_e32 v20, 16, v17
	v_cmp_ne_u32_e32 vcc, 2, v26
	v_lshlrev_b16_e32 v19, 8, v19
	v_cndmask_b32_e32 v20, 23, v20, vcc
	v_or_b32_sdwa v19, v20, v19 dst_sel:WORD_1 dst_unused:UNUSED_PAD src0_sel:BYTE_0 src1_sel:DWORD
	v_cmp_ne_u32_e32 vcc, 20, v26
	v_or_b32_sdwa v18, v18, v19 dst_sel:DWORD dst_unused:UNUSED_PAD src0_sel:WORD_0 src1_sel:DWORD
	v_cndmask_b32_e32 v19, 23, v40, vcc
	v_lshrrev_b32_e32 v20, 8, v40
	v_cmp_ne_u32_e32 vcc, 21, v26
	v_cndmask_b32_e32 v20, 23, v20, vcc
	v_lshlrev_b16_e32 v20, 8, v20
	v_or_b32_sdwa v19, v19, v20 dst_sel:DWORD dst_unused:UNUSED_PAD src0_sel:BYTE_0 src1_sel:DWORD
	v_lshrrev_b32_e32 v20, 24, v40
	v_cmp_ne_u32_e32 vcc, 23, v26
	v_cndmask_b32_e32 v20, 23, v20, vcc
	v_lshrrev_b32_e32 v21, 16, v40
	v_cmp_ne_u32_e32 vcc, 22, v26
	v_lshlrev_b16_e32 v20, 8, v20
	v_cndmask_b32_e32 v21, 23, v21, vcc
	v_or_b32_sdwa v20, v21, v20 dst_sel:WORD_1 dst_unused:UNUSED_PAD src0_sel:BYTE_0 src1_sel:DWORD
	v_cmp_ne_u32_e32 vcc, 16, v26
	v_or_b32_sdwa v41, v19, v20 dst_sel:DWORD dst_unused:UNUSED_PAD src0_sel:WORD_0 src1_sel:DWORD
	;; [unrolled: 16-line block ×5, first 2 shown]
	v_cndmask_b32_e32 v19, 23, v23, vcc
	v_lshrrev_b32_e32 v20, 8, v23
	v_cmp_ne_u32_e32 vcc, 5, v26
	v_cndmask_b32_e32 v20, 23, v20, vcc
	v_lshlrev_b16_e32 v20, 8, v20
	v_or_b32_sdwa v19, v19, v20 dst_sel:DWORD dst_unused:UNUSED_PAD src0_sel:BYTE_0 src1_sel:DWORD
	v_lshrrev_b32_e32 v20, 24, v23
	v_cmp_ne_u32_e32 vcc, 7, v26
	v_cndmask_b32_e32 v20, 23, v20, vcc
	v_lshrrev_b32_e32 v21, 16, v23
	v_cmp_ne_u32_e32 vcc, 6, v26
	v_lshlrev_b16_e32 v20, 8, v20
	v_cndmask_b32_e32 v21, 23, v21, vcc
	v_and_b32_e32 v27, 0x800000, v27
	v_or_b32_sdwa v20, v21, v20 dst_sel:WORD_1 dst_unused:UNUSED_PAD src0_sel:BYTE_0 src1_sel:DWORD
	v_or_b32_sdwa v19, v19, v20 dst_sel:DWORD dst_unused:UNUSED_PAD src0_sel:WORD_0 src1_sel:DWORD
	v_cmp_eq_u32_e32 vcc, 0, v27
	v_cndmask_b32_e32 v18, v18, v17, vcc
	v_cndmask_b32_e32 v19, v19, v23, vcc
	v_lshrrev_b64 v[20:21], 24, v[18:19]
	v_cndmask_b32_e32 v21, v24, v34, vcc
	v_cndmask_b32_e32 v22, v22, v35, vcc
	v_lshrrev_b64 v[23:24], 24, v[21:22]
	;; [unrolled: 3-line block ×3, first 2 shown]
	s_mov_b32 s8, 0
	s_mov_b32 s10, 0x55555555
	v_lshrrev_b32_e32 v62, 8, v18
	v_lshrrev_b32_e32 v27, 24, v19
	v_lshrrev_b32_e32 v63, 16, v19
	v_lshrrev_b32_e32 v64, 8, v19
	v_lshrrev_b32_e32 v65, 16, v21
	v_lshrrev_b32_e32 v66, 8, v21
	v_lshrrev_b32_e32 v68, 24, v22
	v_lshrrev_b32_e32 v69, 16, v22
	v_lshrrev_b32_e32 v70, 8, v22
	v_lshrrev_b32_e32 v71, 16, v24
	v_lshrrev_b32_e32 v72, 8, v24
	v_lshrrev_b32_e32 v73, 8, v25
	v_mov_b32_e32 v17, 0
	s_mov_b64 s[6:7], 0
	s_mov_b32 s9, 0x3fd00000
	s_mov_b32 s11, 0x3fd55555
	v_mov_b32_e32 v74, 0xd0
	v_mov_b32_e32 v75, 3
	s_mov_b64 s[12:13], 0
	s_branch .LBB1_322
.LBB1_320:                              ;   in Loop: Header=BB1_322 Depth=1
	s_or_b64 exec, exec, s[16:17]
	v_mov_b32_e32 v79, v76
	v_mov_b32_e32 v76, v78
.LBB1_321:                              ;   in Loop: Header=BB1_322 Depth=1
	s_or_b64 exec, exec, s[14:15]
	v_lshl_add_u32 v88, v76, 3, v74
	buffer_load_dword v77, v88, s[0:3], 0 offen offset:68
	buffer_load_dword v78, v88, s[0:3], 0 offen offset:128
	;; [unrolled: 1-line block ×3, first 2 shown]
	v_lshl_add_u32 v89, v79, 3, v74
	buffer_load_dword v80, v88, s[0:3], 0 offen
	buffer_load_dword v83, v89, s[0:3], 0 offen offset:68
	buffer_load_dword v84, v89, s[0:3], 0 offen offset:128
	;; [unrolled: 1-line block ×4, first 2 shown]
	buffer_load_dword v86, v89, s[0:3], 0 offen
	buffer_load_dword v87, v89, s[0:3], 0 offen offset:4
	buffer_load_dword v85, v89, s[0:3], 0 offen offset:132
	;; [unrolled: 1-line block ×3, first 2 shown]
	s_waitcnt vmcnt(32)
	v_add_f64 v[40:41], v[40:41], v[44:45]
	s_waitcnt vmcnt(24)
	v_add_f64 v[44:45], v[46:47], v[48:49]
	;; [unrolled: 2-line block ×3, first 2 shown]
	s_add_u32 s12, s12, 1
	s_addc_u32 s13, s13, 0
	v_cmp_eq_u64_e32 vcc, s[12:13], v[16:17]
	s_or_b64 s[6:7], vcc, s[6:7]
	v_add_f64 v[40:41], v[40:41], v[42:43]
	s_waitcnt vmcnt(18)
	v_add_f64 v[42:43], v[44:45], v[56:57]
	s_waitcnt vmcnt(12)
	v_add_f64 v[44:45], v[46:47], v[60:61]
	v_add_f64 v[34:35], v[40:41], v[34:35]
	;; [unrolled: 1-line block ×4, first 2 shown]
	v_fma_f64 v[44:45], v[34:35], s[8:9], -v[0:1]
	v_fma_f64 v[40:41], v[40:41], s[8:9], -v[4:5]
	;; [unrolled: 1-line block ×3, first 2 shown]
	v_mul_f64 v[42:43], v[32:33], v[44:45]
	s_waitcnt vmcnt(5)
	v_add_f64 v[44:45], v[82:83], -v[4:5]
	s_waitcnt vmcnt(4)
	v_add_f64 v[48:49], v[80:81], -v[0:1]
	;; [unrolled: 2-line block ×3, first 2 shown]
	v_add_f64 v[46:47], v[76:77], -v[4:5]
	s_waitcnt vmcnt(1)
	v_add_f64 v[52:53], v[84:85], -v[6:7]
	s_waitcnt vmcnt(0)
	v_add_f64 v[54:55], v[78:79], -v[6:7]
	v_mul_f64 v[56:57], v[30:31], v[44:45]
	v_fma_f64 v[58:59], -v[32:33], v[48:49], v[42:43]
	v_fma_f64 v[84:85], v[32:33], v[48:49], v[42:43]
	v_mul_f64 v[76:77], v[32:33], v[50:51]
	v_mul_f64 v[46:47], v[30:31], v[46:47]
	v_add_f64 v[78:79], v[34:35], v[52:53]
	v_fma_f64 v[80:81], v[32:33], v[50:51], v[42:43]
	v_add_f64 v[82:83], v[34:35], v[54:55]
	v_fma_f64 v[50:51], v[32:33], v[50:51], -v[42:43]
	v_fma_f64 v[86:87], v[30:31], v[40:41], v[56:57]
	v_add_f64 v[88:89], v[52:53], v[54:55]
	v_fma_f64 v[94:95], v[32:33], v[48:49], -v[76:77]
	v_fma_f64 v[60:61], v[30:31], v[40:41], v[46:47]
	v_mul_f64 v[90:91], v[78:79], 0.5
	v_fma_f64 v[80:81], v[36:37], v[80:81], v[0:1]
	v_mul_f64 v[92:93], v[82:83], 0.5
	v_fma_f64 v[44:45], v[30:31], v[44:45], v[46:47]
	v_fma_f64 v[78:79], v[78:79], 0.5, 0
	v_mul_f64 v[96:97], v[88:89], 0.5
	v_fma_f64 v[98:99], v[32:33], v[48:49], v[76:77]
	v_mul_f64 v[58:59], v[58:59], v[60:61]
	v_fma_f64 v[60:61], v[38:39], v[60:61], v[4:5]
	v_fma_f64 v[80:81], v[80:81], v[90:91], 0
	v_mul_f64 v[48:49], v[32:33], v[48:49]
	ds_write2_b64 v67, v[56:57], v[46:47] offset0:10 offset1:12
	v_fma_f64 v[78:79], v[82:83], 0.5, v[78:79]
	ds_write2_b64 v67, v[52:53], v[54:55] offset0:20 offset1:22
	v_fma_f64 v[82:83], v[36:37], v[98:99], v[0:1]
	v_fma_f64 v[50:51], v[50:51], v[86:87], v[58:59]
	;; [unrolled: 1-line block ×4, first 2 shown]
	v_fma_f64 v[86:87], v[90:91], 0.5, v[6:7]
	ds_write2_b64 v67, v[76:77], v[48:49] offset1:2
	v_fma_f64 v[78:79], v[88:89], 0.5, v[78:79]
	v_fma_f64 v[50:51], v[94:95], v[44:45], v[50:51]
	v_fma_f64 v[94:95], v[92:93], 0.5, v[6:7]
	v_fma_f64 v[84:85], v[84:85], v[90:91], 0
	v_fma_f64 v[86:87], v[90:91], v[86:87], 0
	;; [unrolled: 1-line block ×3, first 2 shown]
	v_fma_f64 v[90:91], v[96:97], 0.5, v[6:7]
	v_fma_f64 v[58:59], v[58:59], v[92:93], v[80:81]
	v_mul_f64 v[50:51], v[50:51], 0.5
	v_fma_f64 v[60:61], v[60:61], v[92:93], v[84:85]
	v_fma_f64 v[80:81], v[92:93], v[94:95], v[86:87]
	;; [unrolled: 1-line block ×3, first 2 shown]
	v_mul_f64 v[50:51], v[50:51], s[10:11]
	v_fma_f64 v[44:45], v[44:45], v[96:97], v[60:61]
	v_fma_f64 v[60:61], v[96:97], v[90:91], v[80:81]
	;; [unrolled: 1-line block ×10, first 2 shown]
	s_andn2_b64 exec, exec, s[6:7]
	s_cbranch_execz .LBB1_347
.LBB1_322:                              ; =>This Inner Loop Header: Depth=1
	s_cmp_eq_u32 s12, 1
	s_cselect_b64 vcc, -1, 0
	s_cmp_eq_u32 s12, 2
	v_cndmask_b32_e32 v34, v18, v62, vcc
	s_cselect_b64 vcc, -1, 0
	s_cmp_eq_u32 s12, 3
	v_cndmask_b32_sdwa v34, v34, v18, vcc dst_sel:DWORD dst_unused:UNUSED_PAD src0_sel:DWORD src1_sel:WORD_1
	s_cselect_b64 vcc, -1, 0
	s_cmp_eq_u32 s12, 4
	v_cndmask_b32_e32 v34, v34, v20, vcc
	s_cselect_b64 vcc, -1, 0
	s_cmp_eq_u32 s12, 5
	v_cndmask_b32_e32 v34, v34, v19, vcc
	;; [unrolled: 3-line block ×19, first 2 shown]
	s_cselect_b64 vcc, -1, 0
	s_cmp_eq_u32 s12, 23
	v_cndmask_b32_sdwa v34, v34, v25, vcc dst_sel:DWORD dst_unused:UNUSED_PAD src0_sel:DWORD src1_sel:WORD_1
	s_cselect_b64 vcc, -1, 0
	v_cndmask_b32_sdwa v79, v34, v25, vcc dst_sel:DWORD dst_unused:UNUSED_PAD src0_sel:DWORD src1_sel:BYTE_3
	v_bfe_u32 v76, v79, 2, 6
	v_cmp_lt_i32_e32 vcc, 1, v76
                                        ; implicit-def: $vgpr80
                                        ; implicit-def: $vgpr46
                                        ; implicit-def: $vgpr77
                                        ; implicit-def: $vgpr47
                                        ; implicit-def: $vgpr78
                                        ; implicit-def: $vgpr48
                                        ; implicit-def: $vgpr49
	s_and_saveexec_b64 s[14:15], vcc
	s_xor_b64 s[14:15], exec, s[14:15]
	s_cbranch_execz .LBB1_334
; %bb.323:                              ;   in Loop: Header=BB1_322 Depth=1
	v_cmp_lt_i32_e32 vcc, 2, v76
                                        ; implicit-def: $vgpr80
                                        ; implicit-def: $vgpr46
                                        ; implicit-def: $vgpr77
                                        ; implicit-def: $vgpr47
                                        ; implicit-def: $vgpr78
                                        ; implicit-def: $vgpr48
                                        ; implicit-def: $vgpr49
	s_and_saveexec_b64 s[16:17], vcc
	s_xor_b64 s[16:17], exec, s[16:17]
	s_cbranch_execz .LBB1_331
; %bb.324:                              ;   in Loop: Header=BB1_322 Depth=1
	;; [unrolled: 12-line block ×3, first 2 shown]
	v_cmp_ne_u32_e32 vcc, 4, v76
	s_and_saveexec_b64 s[20:21], vcc
	s_xor_b64 s[20:21], exec, s[20:21]
	s_or_saveexec_b64 s[20:21], s[20:21]
	v_mov_b32_e32 v76, 4
	v_mov_b32_e32 v78, 6
	;; [unrolled: 1-line block ×8, first 2 shown]
	s_xor_b64 exec, exec, s[20:21]
; %bb.326:                              ;   in Loop: Header=BB1_322 Depth=1
	v_mov_b32_e32 v76, 0
	v_mov_b32_e32 v78, 1
	;; [unrolled: 1-line block ×8, first 2 shown]
; %bb.327:                              ;   in Loop: Header=BB1_322 Depth=1
	s_or_b64 exec, exec, s[20:21]
.LBB1_328:                              ;   in Loop: Header=BB1_322 Depth=1
	s_andn2_saveexec_b64 s[18:19], s[18:19]
; %bb.329:                              ;   in Loop: Header=BB1_322 Depth=1
	v_mov_b32_e32 v76, 2
	v_mov_b32_e32 v78, 3
	;; [unrolled: 1-line block ×8, first 2 shown]
; %bb.330:                              ;   in Loop: Header=BB1_322 Depth=1
	s_or_b64 exec, exec, s[18:19]
.LBB1_331:                              ;   in Loop: Header=BB1_322 Depth=1
	s_andn2_saveexec_b64 s[16:17], s[16:17]
; %bb.332:                              ;   in Loop: Header=BB1_322 Depth=1
	v_mov_b32_e32 v76, 0
	v_mov_b32_e32 v78, 4
	;; [unrolled: 1-line block ×8, first 2 shown]
; %bb.333:                              ;   in Loop: Header=BB1_322 Depth=1
	s_or_b64 exec, exec, s[16:17]
.LBB1_334:                              ;   in Loop: Header=BB1_322 Depth=1
	s_andn2_saveexec_b64 s[14:15], s[14:15]
	s_cbranch_execz .LBB1_338
; %bb.335:                              ;   in Loop: Header=BB1_322 Depth=1
	v_cmp_lt_i32_e32 vcc, 0, v76
	v_mov_b32_e32 v78, 2
	v_mov_b32_e32 v77, 6
	v_mov_b32_e32 v80, 4
	v_mov_b32_e32 v49, 0xd0
	v_mov_b32_e32 v46, s38
	v_mov_b32_e32 v47, s34
	v_mov_b32_e32 v48, s35
	s_and_saveexec_b64 s[16:17], vcc
; %bb.336:                              ;   in Loop: Header=BB1_322 Depth=1
	v_mov_b32_e32 v76, 1
	v_mov_b32_e32 v78, 5
	;; [unrolled: 1-line block ×8, first 2 shown]
; %bb.337:                              ;   in Loop: Header=BB1_322 Depth=1
	s_or_b64 exec, exec, s[16:17]
.LBB1_338:                              ;   in Loop: Header=BB1_322 Depth=1
	s_or_b64 exec, exec, s[14:15]
	v_lshl_add_u32 v60, v76, 3, v74
	buffer_load_dword v40, v49, s[0:3], 0 offen
	buffer_load_dword v41, v49, s[0:3], 0 offen offset:4
	buffer_load_dword v44, v48, s[0:3], 0 offen
	buffer_load_dword v45, v48, s[0:3], 0 offen offset:4
	;; [unrolled: 2-line block ×4, first 2 shown]
	v_lshl_add_u32 v81, v78, 3, v74
	v_lshl_add_u32 v82, v77, 3, v74
	;; [unrolled: 1-line block ×3, first 2 shown]
	buffer_load_dword v46, v60, s[0:3], 0 offen offset:64
	buffer_load_dword v47, v60, s[0:3], 0 offen offset:68
	;; [unrolled: 1-line block ×15, first 2 shown]
                                        ; kill: killed $vgpr60
                                        ; kill: killed $vgpr81
                                        ; kill: killed $vgpr83
	buffer_load_dword v60, v82, s[0:3], 0 offen offset:128
	v_and_b32_sdwa v81, v79, v75 dst_sel:DWORD dst_unused:UNUSED_PAD src0_sel:BYTE_0 src1_sel:DWORD
	v_cmp_lt_i32_e32 vcc, 1, v81
                                        ; implicit-def: $vgpr79
	s_and_saveexec_b64 s[14:15], vcc
	s_xor_b64 s[14:15], exec, s[14:15]
	s_cbranch_execz .LBB1_344
; %bb.339:                              ;   in Loop: Header=BB1_322 Depth=1
	v_cmp_lt_i32_e32 vcc, 2, v81
	s_and_saveexec_b64 s[16:17], vcc
	s_xor_b64 s[16:17], exec, s[16:17]
; %bb.340:                              ;   in Loop: Header=BB1_322 Depth=1
                                        ; implicit-def: $vgpr77
; %bb.341:                              ;   in Loop: Header=BB1_322 Depth=1
	s_or_saveexec_b64 s[16:17], s[16:17]
	v_mov_b32_e32 v79, v80
	s_xor_b64 exec, exec, s[16:17]
; %bb.342:                              ;   in Loop: Header=BB1_322 Depth=1
	v_mov_b32_e32 v79, v77
	v_mov_b32_e32 v76, v80
; %bb.343:                              ;   in Loop: Header=BB1_322 Depth=1
	s_or_b64 exec, exec, s[16:17]
                                        ; implicit-def: $vgpr78
                                        ; implicit-def: $vgpr77
                                        ; implicit-def: $vgpr81
.LBB1_344:                              ;   in Loop: Header=BB1_322 Depth=1
	s_andn2_saveexec_b64 s[14:15], s[14:15]
	s_cbranch_execz .LBB1_321
; %bb.345:                              ;   in Loop: Header=BB1_322 Depth=1
	v_cmp_eq_u32_e32 vcc, 1, v81
	s_and_saveexec_b64 s[16:17], vcc
	s_cbranch_execz .LBB1_320
; %bb.346:                              ;   in Loop: Header=BB1_322 Depth=1
	v_mov_b32_e32 v76, v78
	v_mov_b32_e32 v78, v77
	s_branch .LBB1_320
.LBB1_347:
	s_or_b64 exec, exec, s[6:7]
	v_mul_f64 v[0:1], v[30:31], v[40:41]
	ds_write2_b64 v67, v[42:43], v[0:1] offset0:1 offset1:11
	ds_write_b64 v67, v[34:35] offset:168
.LBB1_348:
	s_or_b64 exec, exec, s[4:5]
	v_lshlrev_b64 v[0:1], 5, v[28:29]
	v_mov_b32_e32 v2, s37
	v_add_co_u32_e32 v0, vcc, s36, v0
	v_addc_co_u32_e32 v1, vcc, v2, v1, vcc
	global_store_dwordx4 v[0:1], v[8:11], off
	global_store_dwordx4 v[0:1], v[12:15], off offset:16
.LBB1_349:
	s_endpgm
	.section	.rodata,"a",@progbits
	.p2align	6, 0x0
	.amdhsa_kernel _ZN8rajaperf17lambda_hip_forallILm64EZNS_4apps13INTSC_HEXRECT17runHipVariantImplILm64EEEvNS_9VariantIDEEUllE_EEvllT0_
		.amdhsa_group_segment_fixed_size 15872
		.amdhsa_private_segment_fixed_size 416
		.amdhsa_kernarg_size 88
		.amdhsa_user_sgpr_count 6
		.amdhsa_user_sgpr_private_segment_buffer 1
		.amdhsa_user_sgpr_dispatch_ptr 0
		.amdhsa_user_sgpr_queue_ptr 0
		.amdhsa_user_sgpr_kernarg_segment_ptr 1
		.amdhsa_user_sgpr_dispatch_id 0
		.amdhsa_user_sgpr_flat_scratch_init 0
		.amdhsa_user_sgpr_private_segment_size 0
		.amdhsa_uses_dynamic_stack 0
		.amdhsa_system_sgpr_private_segment_wavefront_offset 1
		.amdhsa_system_sgpr_workgroup_id_x 1
		.amdhsa_system_sgpr_workgroup_id_y 0
		.amdhsa_system_sgpr_workgroup_id_z 0
		.amdhsa_system_sgpr_workgroup_info 0
		.amdhsa_system_vgpr_workitem_id 0
		.amdhsa_next_free_vgpr 132
		.amdhsa_next_free_sgpr 98
		.amdhsa_reserve_vcc 1
		.amdhsa_reserve_flat_scratch 0
		.amdhsa_float_round_mode_32 0
		.amdhsa_float_round_mode_16_64 0
		.amdhsa_float_denorm_mode_32 3
		.amdhsa_float_denorm_mode_16_64 3
		.amdhsa_dx10_clamp 1
		.amdhsa_ieee_mode 1
		.amdhsa_fp16_overflow 0
		.amdhsa_exception_fp_ieee_invalid_op 0
		.amdhsa_exception_fp_denorm_src 0
		.amdhsa_exception_fp_ieee_div_zero 0
		.amdhsa_exception_fp_ieee_overflow 0
		.amdhsa_exception_fp_ieee_underflow 0
		.amdhsa_exception_fp_ieee_inexact 0
		.amdhsa_exception_int_div_zero 0
	.end_amdhsa_kernel
	.section	.text._ZN8rajaperf17lambda_hip_forallILm64EZNS_4apps13INTSC_HEXRECT17runHipVariantImplILm64EEEvNS_9VariantIDEEUllE_EEvllT0_,"axG",@progbits,_ZN8rajaperf17lambda_hip_forallILm64EZNS_4apps13INTSC_HEXRECT17runHipVariantImplILm64EEEvNS_9VariantIDEEUllE_EEvllT0_,comdat
.Lfunc_end1:
	.size	_ZN8rajaperf17lambda_hip_forallILm64EZNS_4apps13INTSC_HEXRECT17runHipVariantImplILm64EEEvNS_9VariantIDEEUllE_EEvllT0_, .Lfunc_end1-_ZN8rajaperf17lambda_hip_forallILm64EZNS_4apps13INTSC_HEXRECT17runHipVariantImplILm64EEEvNS_9VariantIDEEUllE_EEvllT0_
                                        ; -- End function
	.set _ZN8rajaperf17lambda_hip_forallILm64EZNS_4apps13INTSC_HEXRECT17runHipVariantImplILm64EEEvNS_9VariantIDEEUllE_EEvllT0_.num_vgpr, 132
	.set _ZN8rajaperf17lambda_hip_forallILm64EZNS_4apps13INTSC_HEXRECT17runHipVariantImplILm64EEEvNS_9VariantIDEEUllE_EEvllT0_.num_agpr, 0
	.set _ZN8rajaperf17lambda_hip_forallILm64EZNS_4apps13INTSC_HEXRECT17runHipVariantImplILm64EEEvNS_9VariantIDEEUllE_EEvllT0_.numbered_sgpr, 52
	.set _ZN8rajaperf17lambda_hip_forallILm64EZNS_4apps13INTSC_HEXRECT17runHipVariantImplILm64EEEvNS_9VariantIDEEUllE_EEvllT0_.num_named_barrier, 0
	.set _ZN8rajaperf17lambda_hip_forallILm64EZNS_4apps13INTSC_HEXRECT17runHipVariantImplILm64EEEvNS_9VariantIDEEUllE_EEvllT0_.private_seg_size, 416
	.set _ZN8rajaperf17lambda_hip_forallILm64EZNS_4apps13INTSC_HEXRECT17runHipVariantImplILm64EEEvNS_9VariantIDEEUllE_EEvllT0_.uses_vcc, 1
	.set _ZN8rajaperf17lambda_hip_forallILm64EZNS_4apps13INTSC_HEXRECT17runHipVariantImplILm64EEEvNS_9VariantIDEEUllE_EEvllT0_.uses_flat_scratch, 0
	.set _ZN8rajaperf17lambda_hip_forallILm64EZNS_4apps13INTSC_HEXRECT17runHipVariantImplILm64EEEvNS_9VariantIDEEUllE_EEvllT0_.has_dyn_sized_stack, 0
	.set _ZN8rajaperf17lambda_hip_forallILm64EZNS_4apps13INTSC_HEXRECT17runHipVariantImplILm64EEEvNS_9VariantIDEEUllE_EEvllT0_.has_recursion, 0
	.set _ZN8rajaperf17lambda_hip_forallILm64EZNS_4apps13INTSC_HEXRECT17runHipVariantImplILm64EEEvNS_9VariantIDEEUllE_EEvllT0_.has_indirect_call, 0
	.section	.AMDGPU.csdata,"",@progbits
; Kernel info:
; codeLenInByte = 55584
; TotalNumSgprs: 56
; NumVgprs: 132
; ScratchSize: 416
; MemoryBound: 0
; FloatMode: 240
; IeeeMode: 1
; LDSByteSize: 15872 bytes/workgroup (compile time only)
; SGPRBlocks: 12
; VGPRBlocks: 32
; NumSGPRsForWavesPerEU: 102
; NumVGPRsForWavesPerEU: 132
; Occupancy: 1
; WaveLimiterHint : 1
; COMPUTE_PGM_RSRC2:SCRATCH_EN: 1
; COMPUTE_PGM_RSRC2:USER_SGPR: 6
; COMPUTE_PGM_RSRC2:TRAP_HANDLER: 0
; COMPUTE_PGM_RSRC2:TGID_X_EN: 1
; COMPUTE_PGM_RSRC2:TGID_Y_EN: 0
; COMPUTE_PGM_RSRC2:TGID_Z_EN: 0
; COMPUTE_PGM_RSRC2:TIDIG_COMP_CNT: 0
	.section	.text._ZN4RAJA6policy3hip4impl18forallp_hip_kernelINS1_8hip_execINS_17iteration_mapping6DirectENS_3hip11IndexGlobalILNS_9named_dimE0ELi64ELi0EEENS7_40AvoidDeviceMaxThreadOccupancyConcretizerINS7_34FractionOffsetOccupancyConcretizerINS_8FractionImLm1ELm1EEELln1EEEEELb1EEENS_9Iterators16numeric_iteratorIllPlEEZN8rajaperf4apps13INTSC_HEXRECT17runHipVariantImplILm64EEEvNSM_9VariantIDEEUllE0_lNS_4expt15ForallParamPackIJEEES6_SA_TnNSt9enable_ifIXaasr3std10is_base_ofINS5_10DirectBaseET4_EE5valuegtsrT5_10block_sizeLi0EEmE4typeELm64EEEvT1_T0_T2_T3_,"axG",@progbits,_ZN4RAJA6policy3hip4impl18forallp_hip_kernelINS1_8hip_execINS_17iteration_mapping6DirectENS_3hip11IndexGlobalILNS_9named_dimE0ELi64ELi0EEENS7_40AvoidDeviceMaxThreadOccupancyConcretizerINS7_34FractionOffsetOccupancyConcretizerINS_8FractionImLm1ELm1EEELln1EEEEELb1EEENS_9Iterators16numeric_iteratorIllPlEEZN8rajaperf4apps13INTSC_HEXRECT17runHipVariantImplILm64EEEvNSM_9VariantIDEEUllE0_lNS_4expt15ForallParamPackIJEEES6_SA_TnNSt9enable_ifIXaasr3std10is_base_ofINS5_10DirectBaseET4_EE5valuegtsrT5_10block_sizeLi0EEmE4typeELm64EEEvT1_T0_T2_T3_,comdat
	.protected	_ZN4RAJA6policy3hip4impl18forallp_hip_kernelINS1_8hip_execINS_17iteration_mapping6DirectENS_3hip11IndexGlobalILNS_9named_dimE0ELi64ELi0EEENS7_40AvoidDeviceMaxThreadOccupancyConcretizerINS7_34FractionOffsetOccupancyConcretizerINS_8FractionImLm1ELm1EEELln1EEEEELb1EEENS_9Iterators16numeric_iteratorIllPlEEZN8rajaperf4apps13INTSC_HEXRECT17runHipVariantImplILm64EEEvNSM_9VariantIDEEUllE0_lNS_4expt15ForallParamPackIJEEES6_SA_TnNSt9enable_ifIXaasr3std10is_base_ofINS5_10DirectBaseET4_EE5valuegtsrT5_10block_sizeLi0EEmE4typeELm64EEEvT1_T0_T2_T3_ ; -- Begin function _ZN4RAJA6policy3hip4impl18forallp_hip_kernelINS1_8hip_execINS_17iteration_mapping6DirectENS_3hip11IndexGlobalILNS_9named_dimE0ELi64ELi0EEENS7_40AvoidDeviceMaxThreadOccupancyConcretizerINS7_34FractionOffsetOccupancyConcretizerINS_8FractionImLm1ELm1EEELln1EEEEELb1EEENS_9Iterators16numeric_iteratorIllPlEEZN8rajaperf4apps13INTSC_HEXRECT17runHipVariantImplILm64EEEvNSM_9VariantIDEEUllE0_lNS_4expt15ForallParamPackIJEEES6_SA_TnNSt9enable_ifIXaasr3std10is_base_ofINS5_10DirectBaseET4_EE5valuegtsrT5_10block_sizeLi0EEmE4typeELm64EEEvT1_T0_T2_T3_
	.globl	_ZN4RAJA6policy3hip4impl18forallp_hip_kernelINS1_8hip_execINS_17iteration_mapping6DirectENS_3hip11IndexGlobalILNS_9named_dimE0ELi64ELi0EEENS7_40AvoidDeviceMaxThreadOccupancyConcretizerINS7_34FractionOffsetOccupancyConcretizerINS_8FractionImLm1ELm1EEELln1EEEEELb1EEENS_9Iterators16numeric_iteratorIllPlEEZN8rajaperf4apps13INTSC_HEXRECT17runHipVariantImplILm64EEEvNSM_9VariantIDEEUllE0_lNS_4expt15ForallParamPackIJEEES6_SA_TnNSt9enable_ifIXaasr3std10is_base_ofINS5_10DirectBaseET4_EE5valuegtsrT5_10block_sizeLi0EEmE4typeELm64EEEvT1_T0_T2_T3_
	.p2align	8
	.type	_ZN4RAJA6policy3hip4impl18forallp_hip_kernelINS1_8hip_execINS_17iteration_mapping6DirectENS_3hip11IndexGlobalILNS_9named_dimE0ELi64ELi0EEENS7_40AvoidDeviceMaxThreadOccupancyConcretizerINS7_34FractionOffsetOccupancyConcretizerINS_8FractionImLm1ELm1EEELln1EEEEELb1EEENS_9Iterators16numeric_iteratorIllPlEEZN8rajaperf4apps13INTSC_HEXRECT17runHipVariantImplILm64EEEvNSM_9VariantIDEEUllE0_lNS_4expt15ForallParamPackIJEEES6_SA_TnNSt9enable_ifIXaasr3std10is_base_ofINS5_10DirectBaseET4_EE5valuegtsrT5_10block_sizeLi0EEmE4typeELm64EEEvT1_T0_T2_T3_,@function
_ZN4RAJA6policy3hip4impl18forallp_hip_kernelINS1_8hip_execINS_17iteration_mapping6DirectENS_3hip11IndexGlobalILNS_9named_dimE0ELi64ELi0EEENS7_40AvoidDeviceMaxThreadOccupancyConcretizerINS7_34FractionOffsetOccupancyConcretizerINS_8FractionImLm1ELm1EEELln1EEEEELb1EEENS_9Iterators16numeric_iteratorIllPlEEZN8rajaperf4apps13INTSC_HEXRECT17runHipVariantImplILm64EEEvNSM_9VariantIDEEUllE0_lNS_4expt15ForallParamPackIJEEES6_SA_TnNSt9enable_ifIXaasr3std10is_base_ofINS5_10DirectBaseET4_EE5valuegtsrT5_10block_sizeLi0EEmE4typeELm64EEEvT1_T0_T2_T3_: ; @_ZN4RAJA6policy3hip4impl18forallp_hip_kernelINS1_8hip_execINS_17iteration_mapping6DirectENS_3hip11IndexGlobalILNS_9named_dimE0ELi64ELi0EEENS7_40AvoidDeviceMaxThreadOccupancyConcretizerINS7_34FractionOffsetOccupancyConcretizerINS_8FractionImLm1ELm1EEELln1EEEEELb1EEENS_9Iterators16numeric_iteratorIllPlEEZN8rajaperf4apps13INTSC_HEXRECT17runHipVariantImplILm64EEEvNSM_9VariantIDEEUllE0_lNS_4expt15ForallParamPackIJEEES6_SA_TnNSt9enable_ifIXaasr3std10is_base_ofINS5_10DirectBaseET4_EE5valuegtsrT5_10block_sizeLi0EEmE4typeELm64EEEvT1_T0_T2_T3_
; %bb.0:
	s_load_dwordx4 s[8:11], s[4:5], 0x48
	s_add_u32 s0, s0, s7
	s_mov_b32 s7, 0
	s_addc_u32 s1, s1, 0
	s_lshl_b64 s[6:7], s[6:7], 6
	v_or_b32_e32 v0, s6, v0
	v_mov_b32_e32 v1, s7
	s_waitcnt lgkmcnt(0)
	v_cmp_gt_i64_e32 vcc, s[10:11], v[0:1]
	s_and_saveexec_b64 s[6:7], vcc
	s_cbranch_execz .LBB2_349
; %bb.1:
	s_load_dwordx2 s[6:7], s[4:5], 0x0
	v_mov_b32_e32 v2, s9
	v_add_co_u32_e32 v28, vcc, s8, v0
	v_addc_co_u32_e32 v29, vcc, v1, v2, vcc
	s_waitcnt lgkmcnt(0)
	v_cmp_gt_i64_e32 vcc, s[6:7], v[28:29]
	s_and_b64 exec, exec, vcc
	s_cbranch_execz .LBB2_349
; %bb.2:
	s_load_dwordx16 s[36:51], s[4:5], 0x8
	v_lshlrev_b64 v[8:9], 2, v[28:29]
	s_mov_b32 s20, 0
	s_movk_i32 s30, 0xf8
	s_movk_i32 s31, 0xe8
	s_waitcnt lgkmcnt(0)
	v_mov_b32_e32 v1, s39
	v_add_co_u32_e32 v0, vcc, s38, v8
	v_addc_co_u32_e32 v1, vcc, v1, v9, vcc
	global_load_dword v0, v[0:1], off
	v_mov_b32_e32 v2, s41
	v_mov_b32_e32 v18, s43
	;; [unrolled: 1-line block ×23, first 2 shown]
	s_or_b32 s33, 0xd0, 8
	s_movk_i32 s34, 0x100
	s_movk_i32 s35, 0xe0
	;; [unrolled: 1-line block ×4, first 2 shown]
	s_mov_b32 s24, 0
	s_mov_b64 s[18:19], 0
	s_mov_b32 s21, 0x3fd00000
	s_waitcnt vmcnt(0)
	v_lshlrev_b32_e32 v0, 3, v0
	v_ashrrev_i32_e32 v1, 31, v0
	v_lshlrev_b64 v[0:1], 2, v[0:1]
	v_add_co_u32_e32 v10, vcc, s40, v0
	v_addc_co_u32_e32 v11, vcc, v2, v1, vcc
	global_load_dwordx4 v[0:3], v[10:11], off
	global_load_dwordx4 v[4:7], v[10:11], off offset:16
	s_load_dwordx2 s[8:9], s[48:49], 0x4
	s_load_dwordx4 s[4:7], s[48:49], 0x10
	v_mov_b32_e32 v10, s51
	v_add_co_u32_e32 v8, vcc, s50, v8
	s_waitcnt lgkmcnt(0)
	s_abs_i32 s10, s9
	v_cvt_f32_u32_e32 v11, s10
	v_addc_co_u32_e32 v9, vcc, v10, v9, vcc
	global_load_dword v56, v[8:9], off
	v_rcp_iflag_f32_e32 v57, v11
	s_sub_i32 s11, 0, s10
	s_abs_i32 s12, s8
	s_mul_i32 s8, s9, s8
	s_waitcnt vmcnt(2)
	v_ashrrev_i32_e32 v9, 31, v0
	v_mov_b32_e32 v8, v0
	v_ashrrev_i32_e32 v11, 31, v1
	v_mov_b32_e32 v10, v1
	;; [unrolled: 2-line block ×4, first 2 shown]
	s_waitcnt vmcnt(1)
	v_ashrrev_i32_e32 v3, 31, v4
	v_mov_b32_e32 v2, v4
	v_ashrrev_i32_e32 v15, 31, v5
	v_mov_b32_e32 v14, v5
	;; [unrolled: 2-line block ×4, first 2 shown]
	v_lshlrev_b64 v[6:7], 3, v[8:9]
	v_lshlrev_b64 v[8:9], 3, v[10:11]
	;; [unrolled: 1-line block ×5, first 2 shown]
	v_add_co_u32_e32 v16, vcc, s42, v6
	v_addc_co_u32_e32 v17, vcc, v18, v7, vcc
	v_add_co_u32_e32 v18, vcc, s44, v6
	v_addc_co_u32_e32 v19, vcc, v19, v7, vcc
	;; [unrolled: 2-line block ×5, first 2 shown]
	v_lshlrev_b64 v[0:1], 3, v[0:1]
	v_add_co_u32_e32 v8, vcc, s46, v8
	v_addc_co_u32_e32 v9, vcc, v24, v9, vcc
	v_add_co_u32_e32 v24, vcc, s42, v0
	v_addc_co_u32_e32 v25, vcc, v25, v1, vcc
	;; [unrolled: 2-line block ×6, first 2 shown]
	v_lshlrev_b64 v[2:3], 3, v[2:3]
	v_add_co_u32_e32 v10, vcc, s46, v10
	v_addc_co_u32_e32 v11, vcc, v34, v11, vcc
	v_add_co_u32_e32 v34, vcc, s42, v2
	v_addc_co_u32_e32 v35, vcc, v35, v3, vcc
	;; [unrolled: 2-line block ×6, first 2 shown]
	v_lshlrev_b64 v[4:5], 3, v[4:5]
	global_load_dwordx2 v[16:17], v[16:17], off
	s_nop 0
	global_load_dwordx2 v[42:43], v[18:19], off
	global_load_dwordx2 v[44:45], v[6:7], off
	global_load_dwordx2 v[46:47], v[20:21], off
	global_load_dwordx2 v[48:49], v[22:23], off
	v_add_co_u32_e32 v6, vcc, s46, v12
	v_addc_co_u32_e32 v7, vcc, v50, v13, vcc
	global_load_dwordx2 v[12:13], v[8:9], off
	global_load_dwordx2 v[18:19], v[24:25], off
	global_load_dwordx2 v[20:21], v[26:27], off
	global_load_dwordx2 v[22:23], v[0:1], off
	v_add_co_u32_e32 v0, vcc, s42, v4
	v_addc_co_u32_e32 v1, vcc, v51, v5, vcc
	;; [unrolled: 6-line block ×4, first 2 shown]
	global_load_dwordx2 v[4:5], v[6:7], off
	global_load_dwordx2 v[36:37], v[0:1], off
	;; [unrolled: 1-line block ×4, first 2 shown]
	v_mul_f32_e32 v2, 0x4f7ffffe, v57
	v_cvt_u32_f32_e32 v10, v2
	v_add_co_u32_e32 v0, vcc, s42, v14
	v_addc_co_u32_e32 v1, vcc, v55, v15, vcc
	v_mul_lo_u32 v2, s11, v10
	v_mov_b32_e32 v3, s45
	v_mov_b32_e32 v7, s47
	global_load_dwordx2 v[0:1], v[0:1], off
	v_mul_hi_u32 v11, v10, v2
	v_add_co_u32_e32 v2, vcc, s44, v14
	v_addc_co_u32_e32 v3, vcc, v3, v15, vcc
	global_load_dwordx2 v[2:3], v[2:3], off
	v_add_co_u32_e32 v6, vcc, s46, v14
	v_addc_co_u32_e32 v7, vcc, v7, v15, vcc
	global_load_dwordx2 v[6:7], v[6:7], off
	v_add_u32_e32 v10, v10, v11
	s_waitcnt vmcnt(24)
	v_sub_u32_e32 v11, 0, v56
	v_max_i32_e32 v54, v56, v11
	v_cvt_f32_u32_e32 v11, s12
	s_waitcnt vmcnt(23)
	buffer_store_dword v17, off, s[0:3], 0 offset:212
	buffer_store_dword v16, off, s[0:3], 0 offset:208
	s_waitcnt vmcnt(24)
	buffer_store_dword v43, off, s[0:3], 0 offset:276
	buffer_store_dword v42, off, s[0:3], 0 offset:272
	;; [unrolled: 3-line block ×22, first 2 shown]
	v_rcp_iflag_f32_e32 v0, v11
	v_mul_hi_u32 v10, v54, v10
	s_sub_i32 s11, 0, s12
	v_xor_b32_e32 v15, s9, v56
	v_mul_f32_e32 v0, 0x4f7ffffe, v0
	v_mul_lo_u32 v14, v10, s10
	v_cvt_u32_f32_e32 v0, v0
	v_add_u32_e32 v55, 1, v10
	v_ashrrev_i32_e32 v15, 31, v15
	v_sub_u32_e32 v14, v54, v14
	v_mul_lo_u32 v8, s11, v0
	v_cmp_le_u32_e32 vcc, s10, v14
	v_subrev_u32_e32 v4, s10, v14
	v_cndmask_b32_e32 v1, v10, v55, vcc
	v_cndmask_b32_e32 v4, v14, v4, vcc
	v_add_u32_e32 v5, 1, v1
	v_cmp_le_u32_e32 vcc, s10, v4
	v_cndmask_b32_e32 v1, v1, v5, vcc
	v_mul_hi_u32 v4, v0, v8
	v_xor_b32_e32 v1, v1, v15
	v_sub_u32_e32 v1, v1, v15
	v_sub_u32_e32 v5, 0, v1
	v_max_i32_e32 v5, v1, v5
	v_add_u32_e32 v0, v0, v4
	v_mul_hi_u32 v0, v5, v0
	s_waitcnt vmcnt(45)
	buffer_store_dword v2, off, s[0:3], 0 offset:328
	buffer_store_dword v3, off, s[0:3], 0 offset:332
	s_waitcnt vmcnt(46)
	buffer_store_dword v6, off, s[0:3], 0 offset:392
	v_ashrrev_i32_e32 v2, 31, v1
	v_mul_lo_u32 v1, v1, s9
	v_mul_lo_u32 v0, v0, s12
	s_load_dwordx2 s[10:11], s[48:49], 0x20
	v_mov_b32_e32 v6, s7
	buffer_store_dword v7, off, s[0:3], 0 offset:396
	v_sub_u32_e32 v0, v5, v0
	v_subrev_u32_e32 v3, s12, v0
	v_cmp_le_u32_e32 vcc, s12, v0
	v_cndmask_b32_e32 v0, v0, v3, vcc
	v_subrev_u32_e32 v3, s12, v0
	v_cmp_le_u32_e32 vcc, s12, v0
	v_cndmask_b32_e32 v0, v0, v3, vcc
	v_xor_b32_e32 v0, v0, v2
	v_sub_u32_e32 v4, v0, v2
	v_sub_u32_e32 v0, v56, v1
	v_ashrrev_i32_e32 v1, 31, v0
	v_lshlrev_b64 v[0:1], 3, v[0:1]
	v_ashrrev_i32_e32 v5, 31, v4
	s_waitcnt lgkmcnt(0)
	v_mov_b32_e32 v2, s11
	v_add_co_u32_e32 v0, vcc, s10, v0
	v_lshlrev_b64 v[4:5], 3, v[4:5]
	v_addc_co_u32_e32 v1, vcc, v2, v1, vcc
	v_add_co_u32_e32 v4, vcc, s6, v4
	v_addc_co_u32_e32 v5, vcc, v6, v5, vcc
	flat_load_dwordx4 v[0:3], v[0:1]
	s_abs_i32 s9, s8
	flat_load_dwordx4 v[4:7], v[4:5]
	v_cvt_f32_u32_e32 v8, s9
	s_sub_i32 s6, 0, s9
	v_xor_b32_e32 v9, s8, v56
	v_ashrrev_i32_e32 v9, 31, v9
	v_rcp_iflag_f32_e32 v8, v8
	v_mov_b32_e32 v38, 8
	v_mov_b32_e32 v39, 0
	v_mul_f32_e32 v8, 0x4f7ffffe, v8
	v_cvt_u32_f32_e32 v8, v8
	s_waitcnt vmcnt(0) lgkmcnt(0)
	v_add_f64 v[10:11], v[2:3], -v[0:1]
	v_mul_lo_u32 v2, s6, v8
	v_add_f64 v[12:13], v[6:7], -v[4:5]
	s_mov_b32 s6, 0x174d6123
	s_mov_b32 s7, 0x2f52f8ac
	v_mul_hi_u32 v6, v8, v2
	v_add_u32_e32 v6, v8, v6
	v_mul_f64 v[2:3], v[10:11], v[12:13]
	v_mul_hi_u32 v6, v54, v6
	v_mov_b32_e32 v8, s5
	v_mul_lo_u32 v7, v6, s9
	v_add_u32_e32 v16, 1, v6
	v_fma_f64 v[14:15], v[2:3], v[2:3], s[6:7]
	v_sub_u32_e32 v7, v54, v7
	v_cmp_le_u32_e32 vcc, s9, v7
	v_cndmask_b32_e32 v6, v6, v16, vcc
	v_subrev_u32_e32 v18, s9, v7
	v_cndmask_b32_e32 v7, v7, v18, vcc
	v_add_u32_e32 v18, 1, v6
	v_cmp_le_u32_e32 vcc, s9, v7
	v_div_scale_f64 v[16:17], s[6:7], v[14:15], v[14:15], v[2:3]
	v_cndmask_b32_e32 v6, v6, v18, vcc
	v_xor_b32_e32 v6, v6, v9
	v_sub_u32_e32 v6, v6, v9
	v_ashrrev_i32_e32 v7, 31, v6
	v_lshlrev_b64 v[6:7], 3, v[6:7]
	v_add_co_u32_e32 v6, vcc, s4, v6
	v_addc_co_u32_e32 v7, vcc, v8, v7, vcc
	flat_load_dwordx4 v[6:9], v[6:7]
	v_rcp_f64_e32 v[18:19], v[16:17]
	v_fma_f64 v[20:21], -v[16:17], v[18:19], 1.0
	v_fma_f64 v[18:19], v[18:19], v[20:21], v[18:19]
	v_div_scale_f64 v[20:21], vcc, v[2:3], v[14:15], v[2:3]
	v_fma_f64 v[22:23], -v[16:17], v[18:19], 1.0
	v_fma_f64 v[18:19], v[18:19], v[22:23], v[18:19]
	v_mul_f64 v[22:23], v[20:21], v[18:19]
	v_fma_f64 v[16:17], -v[16:17], v[22:23], v[20:21]
	v_div_fmas_f64 v[16:17], v[16:17], v[18:19], v[22:23]
	s_waitcnt vmcnt(0) lgkmcnt(0)
	v_add_f64 v[18:19], v[8:9], -v[6:7]
	v_cmp_gt_f64_e32 vcc, v[8:9], v[6:7]
	v_div_fixup_f64 v[8:9], v[16:17], v[14:15], v[2:3]
	v_mov_b32_e32 v14, 0
	buffer_store_dword v14, off, s[0:3], 0 offset:8
	buffer_store_dword v14, off, s[0:3], 0 offset:4
	buffer_store_dword v14, off, s[0:3], 0
	v_cndmask_b32_e32 v35, 0, v19, vcc
	v_cndmask_b32_e32 v34, 0, v18, vcc
	v_mul_f64 v[32:33], v[12:13], v[8:9]
	v_mul_f64 v[30:31], v[10:11], v[8:9]
	s_branch .LBB2_6
.LBB2_3:                                ;   in Loop: Header=BB2_6 Depth=1
	s_or_b64 exec, exec, s[16:17]
.LBB2_4:                                ;   in Loop: Header=BB2_6 Depth=1
	s_or_b64 exec, exec, s[14:15]
	buffer_load_dword v9, v8, s[0:3], 0 offen
	s_waitcnt vmcnt(0)
	v_lshl_or_b32 v9, 8, s24, v9
	buffer_store_dword v9, v8, s[0:3], 0 offen
.LBB2_5:                                ;   in Loop: Header=BB2_6 Depth=1
	s_or_b64 exec, exec, s[22:23]
	s_add_i32 s24, s24, 4
	s_add_u32 s18, s18, 1
	s_addc_u32 s19, s19, 0
	s_cmp_lg_u64 s[18:19], 6
	s_cbranch_scc0 .LBB2_128
.LBB2_6:                                ; =>This Inner Loop Header: Depth=1
	s_cmp_lt_i32 s18, 2
	s_cbranch_scc1 .LBB2_13
; %bb.7:                                ;   in Loop: Header=BB2_6 Depth=1
	s_cmp_gt_i32 s18, 2
	s_cbranch_scc0 .LBB2_14
; %bb.8:                                ;   in Loop: Header=BB2_6 Depth=1
	s_cmp_gt_i32 s18, 3
	s_cbranch_scc0 .LBB2_15
; %bb.9:                                ;   in Loop: Header=BB2_6 Depth=1
	s_cmp_eq_u32 s18, 4
	s_mov_b64 s[4:5], -1
	s_cbranch_scc0 .LBB2_11
; %bb.10:                               ;   in Loop: Header=BB2_6 Depth=1
	s_mov_b64 s[4:5], 0
.LBB2_11:                               ;   in Loop: Header=BB2_6 Depth=1
.LBB2_12:                               ;   in Loop: Header=BB2_6 Depth=1
	s_movk_i32 s14, 0xd0
	s_mov_b32 s11, 0
	s_mov_b32 s10, 1
	;; [unrolled: 1-line block ×7, first 2 shown]
	s_branch .LBB2_17
.LBB2_13:                               ;   in Loop: Header=BB2_6 Depth=1
	s_mov_b64 s[4:5], 0
                                        ; implicit-def: $sgpr8
                                        ; implicit-def: $sgpr12
                                        ; implicit-def: $sgpr9
                                        ; implicit-def: $sgpr13
                                        ; implicit-def: $sgpr10
                                        ; implicit-def: $sgpr15
                                        ; implicit-def: $sgpr11
                                        ; implicit-def: $sgpr14
	s_cbranch_execnz .LBB2_20
	s_branch .LBB2_24
.LBB2_14:                               ;   in Loop: Header=BB2_6 Depth=1
	s_mov_b64 s[4:5], 0
                                        ; implicit-def: $sgpr8
                                        ; implicit-def: $sgpr12
                                        ; implicit-def: $sgpr9
                                        ; implicit-def: $sgpr13
                                        ; implicit-def: $sgpr10
                                        ; implicit-def: $sgpr15
                                        ; implicit-def: $sgpr11
                                        ; implicit-def: $sgpr14
	s_cbranch_execnz .LBB2_18
	s_branch .LBB2_19
.LBB2_15:                               ;   in Loop: Header=BB2_6 Depth=1
	s_mov_b64 s[4:5], 0
	s_cbranch_execz .LBB2_12
; %bb.16:                               ;   in Loop: Header=BB2_6 Depth=1
	s_mov_b32 s11, 2
	s_mov_b32 s10, 3
	;; [unrolled: 1-line block ×8, first 2 shown]
.LBB2_17:                               ;   in Loop: Header=BB2_6 Depth=1
	s_branch .LBB2_19
.LBB2_18:                               ;   in Loop: Header=BB2_6 Depth=1
	s_movk_i32 s14, 0xd0
	s_mov_b32 s11, 0
	s_mov_b32 s10, 4
	;; [unrolled: 1-line block ×7, first 2 shown]
.LBB2_19:                               ;   in Loop: Header=BB2_6 Depth=1
	s_branch .LBB2_24
.LBB2_20:                               ;   in Loop: Header=BB2_6 Depth=1
	s_cmp_gt_i32 s18, 0
	s_mov_b64 s[6:7], -1
	s_cbranch_scc0 .LBB2_22
; %bb.21:                               ;   in Loop: Header=BB2_6 Depth=1
	s_mov_b64 s[6:7], 0
.LBB2_22:                               ;   in Loop: Header=BB2_6 Depth=1
	s_andn2_b64 vcc, exec, s[6:7]
	s_mov_b32 s11, 1
	s_cbranch_vccnz .LBB2_44
; %bb.23:                               ;   in Loop: Header=BB2_6 Depth=1
	s_cmp_lg_u32 s18, 0
	s_movk_i32 s14, 0xd0
	s_mov_b32 s10, 2
	s_mov_b32 s9, 6
	;; [unrolled: 1-line block ×3, first 2 shown]
	s_cselect_b64 s[4:5], -1, 0
	s_mov_b32 s12, s38
	s_mov_b32 s13, s34
	;; [unrolled: 1-line block ×4, first 2 shown]
.LBB2_24:                               ;   in Loop: Header=BB2_6 Depth=1
	s_and_b64 vcc, exec, s[4:5]
	s_cbranch_vccz .LBB2_26
.LBB2_25:                               ;   in Loop: Header=BB2_6 Depth=1
	s_mov_b32 s8, 5
	s_mov_b32 s9, 7
	;; [unrolled: 1-line block ×8, first 2 shown]
.LBB2_26:                               ;   in Loop: Header=BB2_6 Depth=1
	v_mov_b32_e32 v16, s14
	v_mov_b32_e32 v17, s15
	buffer_load_dword v8, v16, s[0:3], 0 offen
	buffer_load_dword v9, v16, s[0:3], 0 offen offset:4
	buffer_load_dword v14, v17, s[0:3], 0 offen
	buffer_load_dword v15, v17, s[0:3], 0 offen offset:4
	v_mov_b32_e32 v18, s13
	buffer_load_dword v16, v18, s[0:3], 0 offen
	buffer_load_dword v17, v18, s[0:3], 0 offen offset:4
	v_mov_b32_e32 v20, s12
	buffer_load_dword v18, v20, s[0:3], 0 offen
	buffer_load_dword v19, v20, s[0:3], 0 offen offset:4
	s_waitcnt vmcnt(4)
	v_add_f64 v[20:21], v[8:9], v[14:15]
	v_add_f64 v[8:9], v[8:9], -v[0:1]
	s_waitcnt vmcnt(2)
	v_add_f64 v[16:17], v[20:21], v[16:17]
	v_add_f64 v[20:21], v[14:15], -v[0:1]
	s_waitcnt vmcnt(0)
	v_add_f64 v[16:17], v[16:17], v[18:19]
	v_fma_f64 v[18:19], v[16:17], s[20:21], -v[0:1]
	v_mul_f64 v[16:17], v[32:33], v[8:9]
	v_mul_f64 v[8:9], v[32:33], v[20:21]
	v_mul_f64 v[14:15], v[32:33], v[18:19]
	v_cmp_ngt_f64_e32 vcc, 0, v[16:17]
	v_cmp_ngt_f64_e64 s[6:7], 0, v[8:9]
	v_cmp_ngt_f64_e64 s[4:5], 0, v[14:15]
	s_or_b64 s[4:5], vcc, s[4:5]
	s_or_b64 s[4:5], s[4:5], s[6:7]
	s_and_saveexec_b64 s[22:23], s[4:5]
	s_cbranch_execz .LBB2_36
; %bb.27:                               ;   in Loop: Header=BB2_6 Depth=1
	v_cmp_nle_f64_e32 vcc, 1.0, v[16:17]
	v_cmp_nle_f64_e64 s[4:5], 1.0, v[14:15]
	v_cmp_nle_f64_e64 s[6:7], 1.0, v[8:9]
	s_or_b64 s[4:5], vcc, s[4:5]
	s_or_b64 s[4:5], s[4:5], s[6:7]
	s_and_b64 exec, exec, s[4:5]
	s_cbranch_execz .LBB2_36
; %bb.28:                               ;   in Loop: Header=BB2_6 Depth=1
	s_lshl_b32 s4, s11, 3
	s_add_i32 s11, s4, 0xd0
	s_lshl_b32 s4, s10, 3
	v_mov_b32_e32 v22, s11
	s_add_i32 s10, s4, 0xd0
	v_mov_b32_e32 v23, s10
	buffer_load_dword v18, v22, s[0:3], 0 offen offset:64
	buffer_load_dword v19, v22, s[0:3], 0 offen offset:68
	;; [unrolled: 1-line block ×4, first 2 shown]
	s_lshl_b32 s4, s9, 3
	s_add_i32 s9, s4, 0xd0
	v_mov_b32_e32 v24, s9
	buffer_load_dword v22, v24, s[0:3], 0 offen offset:64
	buffer_load_dword v23, v24, s[0:3], 0 offen offset:68
	s_lshl_b32 s4, s8, 3
	s_add_i32 s8, s4, 0xd0
	v_mov_b32_e32 v26, s8
	buffer_load_dword v24, v26, s[0:3], 0 offen offset:64
	buffer_load_dword v25, v26, s[0:3], 0 offen offset:68
	s_waitcnt vmcnt(4)
	v_add_f64 v[26:27], v[18:19], v[20:21]
	v_add_f64 v[18:19], v[18:19], -v[4:5]
	s_waitcnt vmcnt(2)
	v_add_f64 v[22:23], v[26:27], v[22:23]
	v_add_f64 v[26:27], v[20:21], -v[4:5]
	s_waitcnt vmcnt(0)
	v_add_f64 v[22:23], v[22:23], v[24:25]
	v_fma_f64 v[24:25], v[22:23], s[20:21], -v[4:5]
	v_mul_f64 v[22:23], v[30:31], v[18:19]
	v_mul_f64 v[18:19], v[30:31], v[26:27]
	;; [unrolled: 1-line block ×3, first 2 shown]
	v_cmp_ngt_f64_e32 vcc, 0, v[22:23]
	v_cmp_ngt_f64_e64 s[6:7], 0, v[18:19]
	v_cmp_ngt_f64_e64 s[4:5], 0, v[20:21]
	s_or_b64 s[4:5], vcc, s[4:5]
	s_or_b64 s[4:5], s[4:5], s[6:7]
	s_and_b64 exec, exec, s[4:5]
	s_cbranch_execz .LBB2_36
; %bb.29:                               ;   in Loop: Header=BB2_6 Depth=1
	v_cmp_nle_f64_e32 vcc, 1.0, v[22:23]
	v_cmp_nle_f64_e64 s[4:5], 1.0, v[20:21]
	v_cmp_nle_f64_e64 s[6:7], 1.0, v[18:19]
	s_or_b64 s[4:5], vcc, s[4:5]
	s_or_b64 s[4:5], s[4:5], s[6:7]
	s_and_b64 exec, exec, s[4:5]
	s_cbranch_execz .LBB2_36
; %bb.30:                               ;   in Loop: Header=BB2_6 Depth=1
	v_mov_b32_e32 v26, s11
	v_mov_b32_e32 v27, s10
	buffer_load_dword v24, v26, s[0:3], 0 offen offset:128
	buffer_load_dword v25, v26, s[0:3], 0 offen offset:132
	buffer_load_dword v40, v27, s[0:3], 0 offen offset:128
	buffer_load_dword v41, v27, s[0:3], 0 offen offset:132
	v_mov_b32_e32 v36, s9
	buffer_load_dword v26, v36, s[0:3], 0 offen offset:128
	buffer_load_dword v27, v36, s[0:3], 0 offen offset:132
	v_mov_b32_e32 v42, s8
	buffer_load_dword v36, v42, s[0:3], 0 offen offset:128
	buffer_load_dword v37, v42, s[0:3], 0 offen offset:132
	s_waitcnt vmcnt(4)
	v_add_f64 v[42:43], v[24:25], v[40:41]
	s_waitcnt vmcnt(2)
	v_add_f64 v[26:27], v[42:43], v[26:27]
	;; [unrolled: 2-line block ×3, first 2 shown]
	v_add_f64 v[36:37], v[24:25], -v[6:7]
	v_add_f64 v[24:25], v[40:41], -v[6:7]
	v_fma_f64 v[26:27], v[26:27], s[20:21], -v[6:7]
	v_cmp_ngt_f64_e32 vcc, 0, v[36:37]
	v_cmp_ngt_f64_e64 s[6:7], 0, v[24:25]
	v_cmp_ngt_f64_e64 s[4:5], 0, v[26:27]
	s_or_b64 s[4:5], vcc, s[4:5]
	s_or_b64 s[4:5], s[4:5], s[6:7]
	s_and_b64 exec, exec, s[4:5]
	s_cbranch_execz .LBB2_36
; %bb.31:                               ;   in Loop: Header=BB2_6 Depth=1
	v_cmp_le_f64_e32 vcc, 0, v[16:17]
	v_cmp_le_f64_e64 s[4:5], 0, v[14:15]
	v_cmp_le_f64_e64 s[6:7], 0, v[8:9]
	v_cmp_gt_f64_e64 s[8:9], 1.0, v[16:17]
	v_cmp_gt_f64_e64 s[10:11], 1.0, v[14:15]
	;; [unrolled: 1-line block ×3, first 2 shown]
	v_cmp_le_f64_e64 s[14:15], 0, v[22:23]
	v_cmp_le_f64_e64 s[16:17], 0, v[20:21]
	v_mov_b32_e32 v8, 8
	s_and_b64 s[4:5], vcc, s[4:5]
	s_and_b64 s[4:5], s[4:5], s[6:7]
	v_cmp_le_f64_e32 vcc, 0, v[18:19]
	s_and_b64 s[26:27], s[8:9], s[4:5]
	v_cmp_gt_f64_e64 s[4:5], 1.0, v[22:23]
	v_cmp_gt_f64_e64 s[6:7], 1.0, v[20:21]
	;; [unrolled: 1-line block ×3, first 2 shown]
	s_and_b64 s[10:11], s[26:27], s[10:11]
	s_and_b64 s[10:11], s[10:11], s[12:13]
	;; [unrolled: 1-line block ×4, first 2 shown]
	s_and_b64 s[10:11], s[10:11], vcc
	s_and_b64 s[4:5], s[4:5], s[10:11]
	s_and_b64 s[4:5], s[4:5], s[6:7]
	;; [unrolled: 1-line block ×3, first 2 shown]
	s_and_saveexec_b64 s[14:15], s[4:5]
	s_cbranch_execz .LBB2_35
; %bb.32:                               ;   in Loop: Header=BB2_6 Depth=1
	v_cmp_nge_f64_e32 vcc, v[36:37], v[34:35]
	v_cmp_nge_f64_e64 s[4:5], v[26:27], v[34:35]
	v_cmp_nge_f64_e64 s[6:7], v[24:25], v[34:35]
	v_mov_b32_e32 v8, 4
	s_or_b64 s[4:5], vcc, s[4:5]
	s_or_b64 s[4:5], s[4:5], s[6:7]
	s_and_saveexec_b64 s[16:17], s[4:5]
	s_cbranch_execz .LBB2_34
; %bb.33:                               ;   in Loop: Header=BB2_6 Depth=1
	v_cmp_le_f64_e32 vcc, 0, v[36:37]
	v_cmp_le_f64_e64 s[4:5], 0, v[26:27]
	v_cmp_le_f64_e64 s[6:7], 0, v[24:25]
	v_cmp_lt_f64_e64 s[8:9], v[36:37], v[34:35]
	v_cmp_lt_f64_e64 s[10:11], v[26:27], v[34:35]
	;; [unrolled: 1-line block ×3, first 2 shown]
	s_and_b64 s[4:5], vcc, s[4:5]
	s_and_b64 s[4:5], s[4:5], s[6:7]
	s_and_b64 s[4:5], s[8:9], s[4:5]
	;; [unrolled: 1-line block ×3, first 2 shown]
	s_and_b64 vcc, s[4:5], s[12:13]
	v_cndmask_b32_e32 v8, v38, v39, vcc
.LBB2_34:                               ;   in Loop: Header=BB2_6 Depth=1
	s_or_b64 exec, exec, s[16:17]
.LBB2_35:                               ;   in Loop: Header=BB2_6 Depth=1
	s_or_b64 exec, exec, s[14:15]
	buffer_load_dword v9, v8, s[0:3], 0 offen
	s_waitcnt vmcnt(0)
	v_lshl_or_b32 v9, 1, s24, v9
	buffer_store_dword v9, v8, s[0:3], 0 offen
.LBB2_36:                               ;   in Loop: Header=BB2_6 Depth=1
	s_or_b64 exec, exec, s[22:23]
	s_cmp_lt_i32 s18, 2
	s_cbranch_scc1 .LBB2_43
; %bb.37:                               ;   in Loop: Header=BB2_6 Depth=1
	s_cmp_gt_i32 s18, 2
	s_cbranch_scc0 .LBB2_45
; %bb.38:                               ;   in Loop: Header=BB2_6 Depth=1
	s_cmp_gt_i32 s18, 3
	s_cbranch_scc0 .LBB2_46
; %bb.39:                               ;   in Loop: Header=BB2_6 Depth=1
	s_cmp_eq_u32 s18, 4
	s_mov_b64 s[4:5], -1
	s_cbranch_scc0 .LBB2_41
; %bb.40:                               ;   in Loop: Header=BB2_6 Depth=1
	s_mov_b64 s[4:5], 0
.LBB2_41:                               ;   in Loop: Header=BB2_6 Depth=1
.LBB2_42:                               ;   in Loop: Header=BB2_6 Depth=1
	s_movk_i32 s14, 0xd0
	s_mov_b32 s11, 0
	s_mov_b32 s10, 1
	;; [unrolled: 1-line block ×7, first 2 shown]
	s_branch .LBB2_48
.LBB2_43:                               ;   in Loop: Header=BB2_6 Depth=1
	s_mov_b64 s[4:5], 0
                                        ; implicit-def: $sgpr8
                                        ; implicit-def: $sgpr12
                                        ; implicit-def: $sgpr9
                                        ; implicit-def: $sgpr13
                                        ; implicit-def: $sgpr10
                                        ; implicit-def: $sgpr15
                                        ; implicit-def: $sgpr11
                                        ; implicit-def: $sgpr14
	s_cbranch_execnz .LBB2_51
	s_branch .LBB2_55
.LBB2_44:                               ;   in Loop: Header=BB2_6 Depth=1
	s_mov_b32 s10, 5
	s_mov_b32 s9, 7
	;; [unrolled: 1-line block ×7, first 2 shown]
	s_and_b64 vcc, exec, s[4:5]
	s_cbranch_vccnz .LBB2_25
	s_branch .LBB2_26
.LBB2_45:                               ;   in Loop: Header=BB2_6 Depth=1
	s_mov_b64 s[4:5], 0
                                        ; implicit-def: $sgpr8
                                        ; implicit-def: $sgpr12
                                        ; implicit-def: $sgpr9
                                        ; implicit-def: $sgpr13
                                        ; implicit-def: $sgpr10
                                        ; implicit-def: $sgpr15
                                        ; implicit-def: $sgpr11
                                        ; implicit-def: $sgpr14
	s_cbranch_execnz .LBB2_49
	s_branch .LBB2_50
.LBB2_46:                               ;   in Loop: Header=BB2_6 Depth=1
	s_mov_b64 s[4:5], 0
	s_cbranch_execz .LBB2_42
; %bb.47:                               ;   in Loop: Header=BB2_6 Depth=1
	s_mov_b32 s11, 2
	s_mov_b32 s10, 3
	;; [unrolled: 1-line block ×8, first 2 shown]
.LBB2_48:                               ;   in Loop: Header=BB2_6 Depth=1
	s_branch .LBB2_50
.LBB2_49:                               ;   in Loop: Header=BB2_6 Depth=1
	s_movk_i32 s14, 0xd0
	s_mov_b32 s11, 0
	s_mov_b32 s10, 4
	;; [unrolled: 1-line block ×7, first 2 shown]
.LBB2_50:                               ;   in Loop: Header=BB2_6 Depth=1
	s_branch .LBB2_55
.LBB2_51:                               ;   in Loop: Header=BB2_6 Depth=1
	s_cmp_gt_i32 s18, 0
	s_mov_b64 s[6:7], -1
	s_cbranch_scc0 .LBB2_53
; %bb.52:                               ;   in Loop: Header=BB2_6 Depth=1
	s_mov_b64 s[6:7], 0
.LBB2_53:                               ;   in Loop: Header=BB2_6 Depth=1
	s_andn2_b64 vcc, exec, s[6:7]
	s_mov_b32 s11, 1
	s_cbranch_vccnz .LBB2_75
; %bb.54:                               ;   in Loop: Header=BB2_6 Depth=1
	s_cmp_lg_u32 s18, 0
	s_movk_i32 s14, 0xd0
	s_mov_b32 s10, 2
	s_mov_b32 s9, 6
	;; [unrolled: 1-line block ×3, first 2 shown]
	s_cselect_b64 s[4:5], -1, 0
	s_mov_b32 s12, s38
	s_mov_b32 s13, s34
	;; [unrolled: 1-line block ×4, first 2 shown]
.LBB2_55:                               ;   in Loop: Header=BB2_6 Depth=1
	s_and_b64 vcc, exec, s[4:5]
	s_cbranch_vccz .LBB2_57
.LBB2_56:                               ;   in Loop: Header=BB2_6 Depth=1
	s_mov_b32 s8, 5
	s_mov_b32 s9, 7
	s_mov_b32 s10, 6
	s_mov_b32 s11, 4
	s_mov_b32 s14, s38
	s_mov_b32 s15, s34
	s_mov_b32 s13, s39
	s_mov_b32 s12, s30
.LBB2_57:                               ;   in Loop: Header=BB2_6 Depth=1
	v_mov_b32_e32 v16, s14
	v_mov_b32_e32 v17, s15
	buffer_load_dword v8, v16, s[0:3], 0 offen
	buffer_load_dword v9, v16, s[0:3], 0 offen offset:4
	buffer_load_dword v14, v17, s[0:3], 0 offen
	buffer_load_dword v15, v17, s[0:3], 0 offen offset:4
	v_mov_b32_e32 v18, s13
	buffer_load_dword v16, v18, s[0:3], 0 offen
	buffer_load_dword v17, v18, s[0:3], 0 offen offset:4
	v_mov_b32_e32 v20, s12
	buffer_load_dword v18, v20, s[0:3], 0 offen
	buffer_load_dword v19, v20, s[0:3], 0 offen offset:4
	s_waitcnt vmcnt(4)
	v_add_f64 v[8:9], v[8:9], v[14:15]
	v_add_f64 v[14:15], v[14:15], -v[0:1]
	s_waitcnt vmcnt(2)
	v_add_f64 v[8:9], v[8:9], v[16:17]
	s_waitcnt vmcnt(0)
	v_add_f64 v[8:9], v[8:9], v[18:19]
	v_add_f64 v[18:19], v[16:17], -v[0:1]
	v_mul_f64 v[16:17], v[32:33], v[14:15]
	v_fma_f64 v[8:9], v[8:9], s[20:21], -v[0:1]
	v_cmp_ngt_f64_e32 vcc, 0, v[16:17]
	v_mul_f64 v[14:15], v[32:33], v[8:9]
	v_mul_f64 v[8:9], v[32:33], v[18:19]
	v_cmp_ngt_f64_e64 s[4:5], 0, v[14:15]
	v_cmp_ngt_f64_e64 s[6:7], 0, v[8:9]
	s_or_b64 s[4:5], vcc, s[4:5]
	s_or_b64 s[4:5], s[4:5], s[6:7]
	s_and_saveexec_b64 s[22:23], s[4:5]
	s_cbranch_execz .LBB2_67
; %bb.58:                               ;   in Loop: Header=BB2_6 Depth=1
	v_cmp_nle_f64_e32 vcc, 1.0, v[16:17]
	v_cmp_nle_f64_e64 s[4:5], 1.0, v[14:15]
	v_cmp_nle_f64_e64 s[6:7], 1.0, v[8:9]
	s_or_b64 s[4:5], vcc, s[4:5]
	s_or_b64 s[4:5], s[4:5], s[6:7]
	s_and_b64 exec, exec, s[4:5]
	s_cbranch_execz .LBB2_67
; %bb.59:                               ;   in Loop: Header=BB2_6 Depth=1
	s_lshl_b32 s4, s11, 3
	s_add_i32 s11, s4, 0xd0
	s_lshl_b32 s4, s10, 3
	v_mov_b32_e32 v22, s11
	s_add_i32 s10, s4, 0xd0
	v_mov_b32_e32 v23, s10
	buffer_load_dword v18, v22, s[0:3], 0 offen offset:64
	buffer_load_dword v19, v22, s[0:3], 0 offen offset:68
	;; [unrolled: 1-line block ×4, first 2 shown]
	s_lshl_b32 s4, s9, 3
	s_add_i32 s9, s4, 0xd0
	v_mov_b32_e32 v24, s9
	buffer_load_dword v22, v24, s[0:3], 0 offen offset:64
	buffer_load_dword v23, v24, s[0:3], 0 offen offset:68
	s_lshl_b32 s4, s8, 3
	s_add_i32 s8, s4, 0xd0
	v_mov_b32_e32 v26, s8
	buffer_load_dword v24, v26, s[0:3], 0 offen offset:64
	buffer_load_dword v25, v26, s[0:3], 0 offen offset:68
	s_waitcnt vmcnt(4)
	v_add_f64 v[18:19], v[18:19], v[20:21]
	v_add_f64 v[20:21], v[20:21], -v[4:5]
	s_waitcnt vmcnt(2)
	v_add_f64 v[18:19], v[18:19], v[22:23]
	s_waitcnt vmcnt(0)
	v_add_f64 v[18:19], v[18:19], v[24:25]
	v_add_f64 v[24:25], v[22:23], -v[4:5]
	v_mul_f64 v[22:23], v[30:31], v[20:21]
	v_fma_f64 v[18:19], v[18:19], s[20:21], -v[4:5]
	v_cmp_ngt_f64_e32 vcc, 0, v[22:23]
	v_mul_f64 v[20:21], v[30:31], v[18:19]
	v_mul_f64 v[18:19], v[30:31], v[24:25]
	v_cmp_ngt_f64_e64 s[4:5], 0, v[20:21]
	v_cmp_ngt_f64_e64 s[6:7], 0, v[18:19]
	s_or_b64 s[4:5], vcc, s[4:5]
	s_or_b64 s[4:5], s[4:5], s[6:7]
	s_and_b64 exec, exec, s[4:5]
	s_cbranch_execz .LBB2_67
; %bb.60:                               ;   in Loop: Header=BB2_6 Depth=1
	v_cmp_nle_f64_e32 vcc, 1.0, v[22:23]
	v_cmp_nle_f64_e64 s[4:5], 1.0, v[20:21]
	v_cmp_nle_f64_e64 s[6:7], 1.0, v[18:19]
	s_or_b64 s[4:5], vcc, s[4:5]
	s_or_b64 s[4:5], s[4:5], s[6:7]
	s_and_b64 exec, exec, s[4:5]
	s_cbranch_execz .LBB2_67
; %bb.61:                               ;   in Loop: Header=BB2_6 Depth=1
	v_mov_b32_e32 v36, s11
	v_mov_b32_e32 v37, s10
	buffer_load_dword v24, v36, s[0:3], 0 offen offset:128
	buffer_load_dword v25, v36, s[0:3], 0 offen offset:132
	;; [unrolled: 1-line block ×4, first 2 shown]
	v_mov_b32_e32 v36, s9
	buffer_load_dword v40, v36, s[0:3], 0 offen offset:128
	buffer_load_dword v41, v36, s[0:3], 0 offen offset:132
	v_mov_b32_e32 v42, s8
	buffer_load_dword v36, v42, s[0:3], 0 offen offset:128
	buffer_load_dword v37, v42, s[0:3], 0 offen offset:132
	s_waitcnt vmcnt(4)
	v_add_f64 v[24:25], v[24:25], v[26:27]
	s_waitcnt vmcnt(2)
	v_add_f64 v[24:25], v[24:25], v[40:41]
	s_waitcnt vmcnt(0)
	v_add_f64 v[24:25], v[24:25], v[36:37]
	v_add_f64 v[36:37], v[26:27], -v[6:7]
	v_fma_f64 v[26:27], v[24:25], s[20:21], -v[6:7]
	v_add_f64 v[24:25], v[40:41], -v[6:7]
	v_cmp_ngt_f64_e32 vcc, 0, v[36:37]
	v_cmp_ngt_f64_e64 s[4:5], 0, v[26:27]
	v_cmp_ngt_f64_e64 s[6:7], 0, v[24:25]
	s_or_b64 s[4:5], vcc, s[4:5]
	s_or_b64 s[4:5], s[4:5], s[6:7]
	s_and_b64 exec, exec, s[4:5]
	s_cbranch_execz .LBB2_67
; %bb.62:                               ;   in Loop: Header=BB2_6 Depth=1
	v_cmp_le_f64_e32 vcc, 0, v[16:17]
	v_cmp_le_f64_e64 s[4:5], 0, v[14:15]
	v_cmp_le_f64_e64 s[6:7], 0, v[8:9]
	v_cmp_gt_f64_e64 s[8:9], 1.0, v[16:17]
	v_cmp_gt_f64_e64 s[10:11], 1.0, v[14:15]
	;; [unrolled: 1-line block ×3, first 2 shown]
	v_cmp_le_f64_e64 s[14:15], 0, v[22:23]
	v_cmp_le_f64_e64 s[16:17], 0, v[20:21]
	v_mov_b32_e32 v8, 8
	s_and_b64 s[4:5], vcc, s[4:5]
	s_and_b64 s[4:5], s[4:5], s[6:7]
	v_cmp_le_f64_e32 vcc, 0, v[18:19]
	s_and_b64 s[26:27], s[8:9], s[4:5]
	v_cmp_gt_f64_e64 s[4:5], 1.0, v[22:23]
	v_cmp_gt_f64_e64 s[6:7], 1.0, v[20:21]
	v_cmp_gt_f64_e64 s[8:9], 1.0, v[18:19]
	s_and_b64 s[10:11], s[26:27], s[10:11]
	s_and_b64 s[10:11], s[10:11], s[12:13]
	;; [unrolled: 1-line block ×4, first 2 shown]
	s_and_b64 s[10:11], s[10:11], vcc
	s_and_b64 s[4:5], s[4:5], s[10:11]
	s_and_b64 s[4:5], s[4:5], s[6:7]
	;; [unrolled: 1-line block ×3, first 2 shown]
	s_and_saveexec_b64 s[14:15], s[4:5]
	s_cbranch_execz .LBB2_66
; %bb.63:                               ;   in Loop: Header=BB2_6 Depth=1
	v_cmp_nge_f64_e32 vcc, v[36:37], v[34:35]
	v_cmp_nge_f64_e64 s[4:5], v[26:27], v[34:35]
	v_cmp_nge_f64_e64 s[6:7], v[24:25], v[34:35]
	v_mov_b32_e32 v8, 4
	s_or_b64 s[4:5], vcc, s[4:5]
	s_or_b64 s[4:5], s[4:5], s[6:7]
	s_and_saveexec_b64 s[16:17], s[4:5]
	s_cbranch_execz .LBB2_65
; %bb.64:                               ;   in Loop: Header=BB2_6 Depth=1
	v_cmp_le_f64_e32 vcc, 0, v[36:37]
	v_cmp_le_f64_e64 s[4:5], 0, v[26:27]
	v_cmp_le_f64_e64 s[6:7], 0, v[24:25]
	v_cmp_lt_f64_e64 s[8:9], v[36:37], v[34:35]
	v_cmp_lt_f64_e64 s[10:11], v[26:27], v[34:35]
	;; [unrolled: 1-line block ×3, first 2 shown]
	s_and_b64 s[4:5], vcc, s[4:5]
	s_and_b64 s[4:5], s[4:5], s[6:7]
	s_and_b64 s[4:5], s[8:9], s[4:5]
	s_and_b64 s[4:5], s[4:5], s[10:11]
	s_and_b64 vcc, s[4:5], s[12:13]
	v_cndmask_b32_e32 v8, v38, v39, vcc
.LBB2_65:                               ;   in Loop: Header=BB2_6 Depth=1
	s_or_b64 exec, exec, s[16:17]
.LBB2_66:                               ;   in Loop: Header=BB2_6 Depth=1
	s_or_b64 exec, exec, s[14:15]
	buffer_load_dword v9, v8, s[0:3], 0 offen
	s_waitcnt vmcnt(0)
	v_lshl_or_b32 v9, 2, s24, v9
	buffer_store_dword v9, v8, s[0:3], 0 offen
.LBB2_67:                               ;   in Loop: Header=BB2_6 Depth=1
	s_or_b64 exec, exec, s[22:23]
	s_cmp_lt_i32 s18, 2
	s_cbranch_scc1 .LBB2_74
; %bb.68:                               ;   in Loop: Header=BB2_6 Depth=1
	s_cmp_gt_i32 s18, 2
	s_cbranch_scc0 .LBB2_76
; %bb.69:                               ;   in Loop: Header=BB2_6 Depth=1
	s_cmp_gt_i32 s18, 3
	s_cbranch_scc0 .LBB2_77
; %bb.70:                               ;   in Loop: Header=BB2_6 Depth=1
	s_cmp_eq_u32 s18, 4
	s_mov_b64 s[4:5], -1
	s_cbranch_scc0 .LBB2_72
; %bb.71:                               ;   in Loop: Header=BB2_6 Depth=1
	s_mov_b64 s[4:5], 0
.LBB2_72:                               ;   in Loop: Header=BB2_6 Depth=1
.LBB2_73:                               ;   in Loop: Header=BB2_6 Depth=1
	s_movk_i32 s14, 0xd0
	s_mov_b32 s11, 0
	s_mov_b32 s10, 1
	s_mov_b32 s9, 3
	s_mov_b32 s8, 2
	s_mov_b32 s12, s35
	s_mov_b32 s13, s31
	s_mov_b32 s15, s33
	s_branch .LBB2_79
.LBB2_74:                               ;   in Loop: Header=BB2_6 Depth=1
	s_mov_b64 s[4:5], 0
                                        ; implicit-def: $sgpr8
                                        ; implicit-def: $sgpr12
                                        ; implicit-def: $sgpr9
                                        ; implicit-def: $sgpr13
                                        ; implicit-def: $sgpr10
                                        ; implicit-def: $sgpr15
                                        ; implicit-def: $sgpr11
                                        ; implicit-def: $sgpr14
	s_cbranch_execnz .LBB2_82
	s_branch .LBB2_86
.LBB2_75:                               ;   in Loop: Header=BB2_6 Depth=1
	s_mov_b32 s10, 5
	s_mov_b32 s9, 7
	;; [unrolled: 1-line block ×7, first 2 shown]
	s_and_b64 vcc, exec, s[4:5]
	s_cbranch_vccnz .LBB2_56
	s_branch .LBB2_57
.LBB2_76:                               ;   in Loop: Header=BB2_6 Depth=1
	s_mov_b64 s[4:5], 0
                                        ; implicit-def: $sgpr8
                                        ; implicit-def: $sgpr12
                                        ; implicit-def: $sgpr9
                                        ; implicit-def: $sgpr13
                                        ; implicit-def: $sgpr10
                                        ; implicit-def: $sgpr15
                                        ; implicit-def: $sgpr11
                                        ; implicit-def: $sgpr14
	s_cbranch_execnz .LBB2_80
	s_branch .LBB2_81
.LBB2_77:                               ;   in Loop: Header=BB2_6 Depth=1
	s_mov_b64 s[4:5], 0
	s_cbranch_execz .LBB2_73
; %bb.78:                               ;   in Loop: Header=BB2_6 Depth=1
	s_mov_b32 s11, 2
	s_mov_b32 s10, 3
	;; [unrolled: 1-line block ×8, first 2 shown]
.LBB2_79:                               ;   in Loop: Header=BB2_6 Depth=1
	s_branch .LBB2_81
.LBB2_80:                               ;   in Loop: Header=BB2_6 Depth=1
	s_movk_i32 s14, 0xd0
	s_mov_b32 s11, 0
	s_mov_b32 s10, 4
	;; [unrolled: 1-line block ×7, first 2 shown]
.LBB2_81:                               ;   in Loop: Header=BB2_6 Depth=1
	s_branch .LBB2_86
.LBB2_82:                               ;   in Loop: Header=BB2_6 Depth=1
	s_cmp_gt_i32 s18, 0
	s_mov_b64 s[6:7], -1
	s_cbranch_scc0 .LBB2_84
; %bb.83:                               ;   in Loop: Header=BB2_6 Depth=1
	s_mov_b64 s[6:7], 0
.LBB2_84:                               ;   in Loop: Header=BB2_6 Depth=1
	s_andn2_b64 vcc, exec, s[6:7]
	s_mov_b32 s11, 1
	s_cbranch_vccnz .LBB2_106
; %bb.85:                               ;   in Loop: Header=BB2_6 Depth=1
	s_cmp_lg_u32 s18, 0
	s_movk_i32 s14, 0xd0
	s_mov_b32 s10, 2
	s_mov_b32 s9, 6
	;; [unrolled: 1-line block ×3, first 2 shown]
	s_cselect_b64 s[4:5], -1, 0
	s_mov_b32 s12, s38
	s_mov_b32 s13, s34
	;; [unrolled: 1-line block ×4, first 2 shown]
.LBB2_86:                               ;   in Loop: Header=BB2_6 Depth=1
	s_and_b64 vcc, exec, s[4:5]
	s_cbranch_vccz .LBB2_88
.LBB2_87:                               ;   in Loop: Header=BB2_6 Depth=1
	s_mov_b32 s8, 5
	s_mov_b32 s9, 7
	;; [unrolled: 1-line block ×8, first 2 shown]
.LBB2_88:                               ;   in Loop: Header=BB2_6 Depth=1
	v_mov_b32_e32 v16, s14
	v_mov_b32_e32 v17, s15
	buffer_load_dword v8, v16, s[0:3], 0 offen
	buffer_load_dword v9, v16, s[0:3], 0 offen offset:4
	buffer_load_dword v14, v17, s[0:3], 0 offen
	buffer_load_dword v15, v17, s[0:3], 0 offen offset:4
	v_mov_b32_e32 v18, s13
	buffer_load_dword v16, v18, s[0:3], 0 offen
	buffer_load_dword v17, v18, s[0:3], 0 offen offset:4
	v_mov_b32_e32 v20, s12
	buffer_load_dword v18, v20, s[0:3], 0 offen
	buffer_load_dword v19, v20, s[0:3], 0 offen offset:4
	s_waitcnt vmcnt(4)
	v_add_f64 v[8:9], v[8:9], v[14:15]
	s_waitcnt vmcnt(2)
	v_add_f64 v[14:15], v[16:17], -v[0:1]
	v_add_f64 v[8:9], v[8:9], v[16:17]
	v_mul_f64 v[16:17], v[32:33], v[14:15]
	s_waitcnt vmcnt(0)
	v_add_f64 v[8:9], v[8:9], v[18:19]
	v_add_f64 v[18:19], v[18:19], -v[0:1]
	v_cmp_ngt_f64_e32 vcc, 0, v[16:17]
	v_fma_f64 v[8:9], v[8:9], s[20:21], -v[0:1]
	v_mul_f64 v[14:15], v[32:33], v[8:9]
	v_mul_f64 v[8:9], v[32:33], v[18:19]
	v_cmp_ngt_f64_e64 s[4:5], 0, v[14:15]
	v_cmp_ngt_f64_e64 s[6:7], 0, v[8:9]
	s_or_b64 s[4:5], vcc, s[4:5]
	s_or_b64 s[4:5], s[4:5], s[6:7]
	s_and_saveexec_b64 s[22:23], s[4:5]
	s_cbranch_execz .LBB2_98
; %bb.89:                               ;   in Loop: Header=BB2_6 Depth=1
	v_cmp_nle_f64_e32 vcc, 1.0, v[16:17]
	v_cmp_nle_f64_e64 s[4:5], 1.0, v[14:15]
	v_cmp_nle_f64_e64 s[6:7], 1.0, v[8:9]
	s_or_b64 s[4:5], vcc, s[4:5]
	s_or_b64 s[4:5], s[4:5], s[6:7]
	s_and_b64 exec, exec, s[4:5]
	s_cbranch_execz .LBB2_98
; %bb.90:                               ;   in Loop: Header=BB2_6 Depth=1
	s_lshl_b32 s4, s11, 3
	s_add_i32 s11, s4, 0xd0
	s_lshl_b32 s4, s10, 3
	v_mov_b32_e32 v22, s11
	s_add_i32 s10, s4, 0xd0
	v_mov_b32_e32 v23, s10
	buffer_load_dword v18, v22, s[0:3], 0 offen offset:64
	buffer_load_dword v19, v22, s[0:3], 0 offen offset:68
	;; [unrolled: 1-line block ×4, first 2 shown]
	s_lshl_b32 s4, s9, 3
	s_add_i32 s9, s4, 0xd0
	v_mov_b32_e32 v24, s9
	buffer_load_dword v22, v24, s[0:3], 0 offen offset:64
	buffer_load_dword v23, v24, s[0:3], 0 offen offset:68
	s_lshl_b32 s4, s8, 3
	s_add_i32 s8, s4, 0xd0
	v_mov_b32_e32 v26, s8
	buffer_load_dword v24, v26, s[0:3], 0 offen offset:64
	buffer_load_dword v25, v26, s[0:3], 0 offen offset:68
	s_waitcnt vmcnt(4)
	v_add_f64 v[18:19], v[18:19], v[20:21]
	s_waitcnt vmcnt(2)
	v_add_f64 v[20:21], v[22:23], -v[4:5]
	v_add_f64 v[18:19], v[18:19], v[22:23]
	v_mul_f64 v[22:23], v[30:31], v[20:21]
	s_waitcnt vmcnt(0)
	v_add_f64 v[18:19], v[18:19], v[24:25]
	v_add_f64 v[24:25], v[24:25], -v[4:5]
	v_cmp_ngt_f64_e32 vcc, 0, v[22:23]
	v_fma_f64 v[18:19], v[18:19], s[20:21], -v[4:5]
	v_mul_f64 v[20:21], v[30:31], v[18:19]
	v_mul_f64 v[18:19], v[30:31], v[24:25]
	v_cmp_ngt_f64_e64 s[4:5], 0, v[20:21]
	v_cmp_ngt_f64_e64 s[6:7], 0, v[18:19]
	s_or_b64 s[4:5], vcc, s[4:5]
	s_or_b64 s[4:5], s[4:5], s[6:7]
	s_and_b64 exec, exec, s[4:5]
	s_cbranch_execz .LBB2_98
; %bb.91:                               ;   in Loop: Header=BB2_6 Depth=1
	v_cmp_nle_f64_e32 vcc, 1.0, v[22:23]
	v_cmp_nle_f64_e64 s[4:5], 1.0, v[20:21]
	v_cmp_nle_f64_e64 s[6:7], 1.0, v[18:19]
	s_or_b64 s[4:5], vcc, s[4:5]
	s_or_b64 s[4:5], s[4:5], s[6:7]
	s_and_b64 exec, exec, s[4:5]
	s_cbranch_execz .LBB2_98
; %bb.92:                               ;   in Loop: Header=BB2_6 Depth=1
	v_mov_b32_e32 v36, s11
	v_mov_b32_e32 v37, s10
	buffer_load_dword v24, v36, s[0:3], 0 offen offset:128
	buffer_load_dword v25, v36, s[0:3], 0 offen offset:132
	;; [unrolled: 1-line block ×4, first 2 shown]
	v_mov_b32_e32 v40, s9
	buffer_load_dword v36, v40, s[0:3], 0 offen offset:128
	buffer_load_dword v37, v40, s[0:3], 0 offen offset:132
	v_mov_b32_e32 v42, s8
	buffer_load_dword v40, v42, s[0:3], 0 offen offset:128
	buffer_load_dword v41, v42, s[0:3], 0 offen offset:132
	s_waitcnt vmcnt(4)
	v_add_f64 v[24:25], v[24:25], v[26:27]
	s_waitcnt vmcnt(2)
	v_add_f64 v[24:25], v[24:25], v[36:37]
	v_add_f64 v[36:37], v[36:37], -v[6:7]
	s_waitcnt vmcnt(0)
	v_add_f64 v[24:25], v[24:25], v[40:41]
	v_cmp_ngt_f64_e32 vcc, 0, v[36:37]
	v_fma_f64 v[26:27], v[24:25], s[20:21], -v[6:7]
	v_add_f64 v[24:25], v[40:41], -v[6:7]
	v_cmp_ngt_f64_e64 s[4:5], 0, v[26:27]
	v_cmp_ngt_f64_e64 s[6:7], 0, v[24:25]
	s_or_b64 s[4:5], vcc, s[4:5]
	s_or_b64 s[4:5], s[4:5], s[6:7]
	s_and_b64 exec, exec, s[4:5]
	s_cbranch_execz .LBB2_98
; %bb.93:                               ;   in Loop: Header=BB2_6 Depth=1
	v_cmp_le_f64_e32 vcc, 0, v[16:17]
	v_cmp_le_f64_e64 s[4:5], 0, v[14:15]
	v_cmp_le_f64_e64 s[6:7], 0, v[8:9]
	v_cmp_gt_f64_e64 s[8:9], 1.0, v[16:17]
	v_cmp_gt_f64_e64 s[10:11], 1.0, v[14:15]
	;; [unrolled: 1-line block ×3, first 2 shown]
	v_cmp_le_f64_e64 s[14:15], 0, v[22:23]
	v_cmp_le_f64_e64 s[16:17], 0, v[20:21]
	v_mov_b32_e32 v8, 8
	s_and_b64 s[4:5], vcc, s[4:5]
	s_and_b64 s[4:5], s[4:5], s[6:7]
	v_cmp_le_f64_e32 vcc, 0, v[18:19]
	s_and_b64 s[26:27], s[8:9], s[4:5]
	v_cmp_gt_f64_e64 s[4:5], 1.0, v[22:23]
	v_cmp_gt_f64_e64 s[6:7], 1.0, v[20:21]
	;; [unrolled: 1-line block ×3, first 2 shown]
	s_and_b64 s[10:11], s[26:27], s[10:11]
	s_and_b64 s[10:11], s[10:11], s[12:13]
	;; [unrolled: 1-line block ×4, first 2 shown]
	s_and_b64 s[10:11], s[10:11], vcc
	s_and_b64 s[4:5], s[4:5], s[10:11]
	s_and_b64 s[4:5], s[4:5], s[6:7]
	s_and_b64 s[4:5], s[4:5], s[8:9]
	s_and_saveexec_b64 s[14:15], s[4:5]
	s_cbranch_execz .LBB2_97
; %bb.94:                               ;   in Loop: Header=BB2_6 Depth=1
	v_cmp_nge_f64_e32 vcc, v[36:37], v[34:35]
	v_cmp_nge_f64_e64 s[4:5], v[26:27], v[34:35]
	v_cmp_nge_f64_e64 s[6:7], v[24:25], v[34:35]
	v_mov_b32_e32 v8, 4
	s_or_b64 s[4:5], vcc, s[4:5]
	s_or_b64 s[4:5], s[4:5], s[6:7]
	s_and_saveexec_b64 s[16:17], s[4:5]
	s_cbranch_execz .LBB2_96
; %bb.95:                               ;   in Loop: Header=BB2_6 Depth=1
	v_cmp_le_f64_e32 vcc, 0, v[36:37]
	v_cmp_le_f64_e64 s[4:5], 0, v[26:27]
	v_cmp_le_f64_e64 s[6:7], 0, v[24:25]
	v_cmp_lt_f64_e64 s[8:9], v[36:37], v[34:35]
	v_cmp_lt_f64_e64 s[10:11], v[26:27], v[34:35]
	;; [unrolled: 1-line block ×3, first 2 shown]
	s_and_b64 s[4:5], vcc, s[4:5]
	s_and_b64 s[4:5], s[4:5], s[6:7]
	s_and_b64 s[4:5], s[8:9], s[4:5]
	s_and_b64 s[4:5], s[4:5], s[10:11]
	s_and_b64 vcc, s[4:5], s[12:13]
	v_cndmask_b32_e32 v8, v38, v39, vcc
.LBB2_96:                               ;   in Loop: Header=BB2_6 Depth=1
	s_or_b64 exec, exec, s[16:17]
.LBB2_97:                               ;   in Loop: Header=BB2_6 Depth=1
	s_or_b64 exec, exec, s[14:15]
	buffer_load_dword v9, v8, s[0:3], 0 offen
	s_waitcnt vmcnt(0)
	v_lshl_or_b32 v9, 4, s24, v9
	buffer_store_dword v9, v8, s[0:3], 0 offen
.LBB2_98:                               ;   in Loop: Header=BB2_6 Depth=1
	s_or_b64 exec, exec, s[22:23]
	s_cmp_lt_i32 s18, 2
	s_cbranch_scc1 .LBB2_105
; %bb.99:                               ;   in Loop: Header=BB2_6 Depth=1
	s_cmp_gt_i32 s18, 2
	s_cbranch_scc0 .LBB2_107
; %bb.100:                              ;   in Loop: Header=BB2_6 Depth=1
	s_cmp_gt_i32 s18, 3
	s_cbranch_scc0 .LBB2_108
; %bb.101:                              ;   in Loop: Header=BB2_6 Depth=1
	s_cmp_eq_u32 s18, 4
	s_mov_b64 s[4:5], -1
	s_cbranch_scc0 .LBB2_103
; %bb.102:                              ;   in Loop: Header=BB2_6 Depth=1
	s_mov_b64 s[4:5], 0
.LBB2_103:                              ;   in Loop: Header=BB2_6 Depth=1
.LBB2_104:                              ;   in Loop: Header=BB2_6 Depth=1
	s_movk_i32 s14, 0xd0
	s_mov_b32 s11, 0
	s_mov_b32 s10, 1
	s_mov_b32 s9, 3
	s_mov_b32 s8, 2
	s_mov_b32 s12, s35
	s_mov_b32 s13, s31
	s_mov_b32 s15, s33
	s_branch .LBB2_110
.LBB2_105:                              ;   in Loop: Header=BB2_6 Depth=1
	s_mov_b64 s[4:5], 0
                                        ; implicit-def: $sgpr8
                                        ; implicit-def: $sgpr12
                                        ; implicit-def: $sgpr9
                                        ; implicit-def: $sgpr13
                                        ; implicit-def: $sgpr10
                                        ; implicit-def: $sgpr15
                                        ; implicit-def: $sgpr11
                                        ; implicit-def: $sgpr14
	s_cbranch_execnz .LBB2_113
	s_branch .LBB2_117
.LBB2_106:                              ;   in Loop: Header=BB2_6 Depth=1
	s_mov_b32 s10, 5
	s_mov_b32 s9, 7
	;; [unrolled: 1-line block ×7, first 2 shown]
	s_and_b64 vcc, exec, s[4:5]
	s_cbranch_vccnz .LBB2_87
	s_branch .LBB2_88
.LBB2_107:                              ;   in Loop: Header=BB2_6 Depth=1
	s_mov_b64 s[4:5], 0
                                        ; implicit-def: $sgpr8
                                        ; implicit-def: $sgpr12
                                        ; implicit-def: $sgpr9
                                        ; implicit-def: $sgpr13
                                        ; implicit-def: $sgpr10
                                        ; implicit-def: $sgpr15
                                        ; implicit-def: $sgpr11
                                        ; implicit-def: $sgpr14
	s_cbranch_execnz .LBB2_111
	s_branch .LBB2_112
.LBB2_108:                              ;   in Loop: Header=BB2_6 Depth=1
	s_mov_b64 s[4:5], 0
	s_cbranch_execz .LBB2_104
; %bb.109:                              ;   in Loop: Header=BB2_6 Depth=1
	s_mov_b32 s11, 2
	s_mov_b32 s10, 3
	;; [unrolled: 1-line block ×8, first 2 shown]
.LBB2_110:                              ;   in Loop: Header=BB2_6 Depth=1
	s_branch .LBB2_112
.LBB2_111:                              ;   in Loop: Header=BB2_6 Depth=1
	s_movk_i32 s14, 0xd0
	s_mov_b32 s11, 0
	s_mov_b32 s10, 4
	;; [unrolled: 1-line block ×7, first 2 shown]
.LBB2_112:                              ;   in Loop: Header=BB2_6 Depth=1
	s_branch .LBB2_117
.LBB2_113:                              ;   in Loop: Header=BB2_6 Depth=1
	s_cmp_gt_i32 s18, 0
	s_mov_b64 s[6:7], -1
	s_cbranch_scc0 .LBB2_115
; %bb.114:                              ;   in Loop: Header=BB2_6 Depth=1
	s_mov_b64 s[6:7], 0
.LBB2_115:                              ;   in Loop: Header=BB2_6 Depth=1
	s_andn2_b64 vcc, exec, s[6:7]
	s_mov_b32 s11, 1
	s_cbranch_vccnz .LBB2_127
; %bb.116:                              ;   in Loop: Header=BB2_6 Depth=1
	s_cmp_lg_u32 s18, 0
	s_movk_i32 s14, 0xd0
	s_mov_b32 s10, 2
	s_mov_b32 s9, 6
	;; [unrolled: 1-line block ×3, first 2 shown]
	s_cselect_b64 s[4:5], -1, 0
	s_mov_b32 s12, s38
	s_mov_b32 s13, s34
	;; [unrolled: 1-line block ×4, first 2 shown]
.LBB2_117:                              ;   in Loop: Header=BB2_6 Depth=1
	s_and_b64 vcc, exec, s[4:5]
	s_cbranch_vccz .LBB2_119
.LBB2_118:                              ;   in Loop: Header=BB2_6 Depth=1
	s_mov_b32 s8, 5
	s_mov_b32 s9, 7
	;; [unrolled: 1-line block ×8, first 2 shown]
.LBB2_119:                              ;   in Loop: Header=BB2_6 Depth=1
	v_mov_b32_e32 v16, s14
	v_mov_b32_e32 v17, s15
	buffer_load_dword v8, v16, s[0:3], 0 offen
	buffer_load_dword v9, v16, s[0:3], 0 offen offset:4
	buffer_load_dword v14, v17, s[0:3], 0 offen
	buffer_load_dword v15, v17, s[0:3], 0 offen offset:4
	v_mov_b32_e32 v18, s13
	buffer_load_dword v16, v18, s[0:3], 0 offen
	buffer_load_dword v17, v18, s[0:3], 0 offen offset:4
	v_mov_b32_e32 v20, s12
	buffer_load_dword v18, v20, s[0:3], 0 offen
	buffer_load_dword v19, v20, s[0:3], 0 offen offset:4
	s_waitcnt vmcnt(4)
	v_add_f64 v[14:15], v[8:9], v[14:15]
	v_add_f64 v[8:9], v[8:9], -v[0:1]
	s_waitcnt vmcnt(2)
	v_add_f64 v[14:15], v[14:15], v[16:17]
	s_waitcnt vmcnt(0)
	v_add_f64 v[16:17], v[18:19], -v[0:1]
	v_mul_f64 v[8:9], v[32:33], v[8:9]
	v_add_f64 v[14:15], v[14:15], v[18:19]
	v_mul_f64 v[16:17], v[32:33], v[16:17]
	v_cmp_ngt_f64_e64 s[6:7], 0, v[8:9]
	v_fma_f64 v[14:15], v[14:15], s[20:21], -v[0:1]
	v_cmp_ngt_f64_e32 vcc, 0, v[16:17]
	v_mul_f64 v[14:15], v[32:33], v[14:15]
	v_cmp_ngt_f64_e64 s[4:5], 0, v[14:15]
	s_or_b64 s[4:5], vcc, s[4:5]
	s_or_b64 s[4:5], s[4:5], s[6:7]
	s_and_saveexec_b64 s[22:23], s[4:5]
	s_cbranch_execz .LBB2_5
; %bb.120:                              ;   in Loop: Header=BB2_6 Depth=1
	v_cmp_nle_f64_e32 vcc, 1.0, v[16:17]
	v_cmp_nle_f64_e64 s[4:5], 1.0, v[14:15]
	v_cmp_nle_f64_e64 s[6:7], 1.0, v[8:9]
	s_or_b64 s[4:5], vcc, s[4:5]
	s_or_b64 s[4:5], s[4:5], s[6:7]
	s_and_b64 exec, exec, s[4:5]
	s_cbranch_execz .LBB2_5
; %bb.121:                              ;   in Loop: Header=BB2_6 Depth=1
	s_lshl_b32 s4, s11, 3
	s_add_i32 s11, s4, 0xd0
	s_lshl_b32 s4, s10, 3
	v_mov_b32_e32 v22, s11
	s_add_i32 s10, s4, 0xd0
	v_mov_b32_e32 v23, s10
	buffer_load_dword v18, v22, s[0:3], 0 offen offset:64
	buffer_load_dword v19, v22, s[0:3], 0 offen offset:68
	;; [unrolled: 1-line block ×4, first 2 shown]
	s_lshl_b32 s4, s9, 3
	s_add_i32 s9, s4, 0xd0
	v_mov_b32_e32 v24, s9
	buffer_load_dword v22, v24, s[0:3], 0 offen offset:64
	buffer_load_dword v23, v24, s[0:3], 0 offen offset:68
	s_lshl_b32 s4, s8, 3
	s_add_i32 s8, s4, 0xd0
	v_mov_b32_e32 v26, s8
	buffer_load_dword v24, v26, s[0:3], 0 offen offset:64
	buffer_load_dword v25, v26, s[0:3], 0 offen offset:68
	s_waitcnt vmcnt(4)
	v_add_f64 v[20:21], v[18:19], v[20:21]
	v_add_f64 v[18:19], v[18:19], -v[4:5]
	s_waitcnt vmcnt(2)
	v_add_f64 v[20:21], v[20:21], v[22:23]
	s_waitcnt vmcnt(0)
	v_add_f64 v[22:23], v[24:25], -v[4:5]
	v_mul_f64 v[18:19], v[30:31], v[18:19]
	v_add_f64 v[20:21], v[20:21], v[24:25]
	v_mul_f64 v[22:23], v[30:31], v[22:23]
	v_cmp_ngt_f64_e64 s[6:7], 0, v[18:19]
	v_fma_f64 v[20:21], v[20:21], s[20:21], -v[4:5]
	v_cmp_ngt_f64_e32 vcc, 0, v[22:23]
	v_mul_f64 v[20:21], v[30:31], v[20:21]
	v_cmp_ngt_f64_e64 s[4:5], 0, v[20:21]
	s_or_b64 s[4:5], vcc, s[4:5]
	s_or_b64 s[4:5], s[4:5], s[6:7]
	s_and_b64 exec, exec, s[4:5]
	s_cbranch_execz .LBB2_5
; %bb.122:                              ;   in Loop: Header=BB2_6 Depth=1
	v_cmp_nle_f64_e32 vcc, 1.0, v[22:23]
	v_cmp_nle_f64_e64 s[4:5], 1.0, v[20:21]
	v_cmp_nle_f64_e64 s[6:7], 1.0, v[18:19]
	s_or_b64 s[4:5], vcc, s[4:5]
	s_or_b64 s[4:5], s[4:5], s[6:7]
	s_and_b64 exec, exec, s[4:5]
	s_cbranch_execz .LBB2_5
; %bb.123:                              ;   in Loop: Header=BB2_6 Depth=1
	v_mov_b32_e32 v36, s11
	v_mov_b32_e32 v37, s10
	buffer_load_dword v24, v36, s[0:3], 0 offen offset:128
	buffer_load_dword v25, v36, s[0:3], 0 offen offset:132
	;; [unrolled: 1-line block ×4, first 2 shown]
	v_mov_b32_e32 v40, s9
	buffer_load_dword v36, v40, s[0:3], 0 offen offset:128
	buffer_load_dword v37, v40, s[0:3], 0 offen offset:132
	v_mov_b32_e32 v42, s8
	buffer_load_dword v40, v42, s[0:3], 0 offen offset:128
	buffer_load_dword v41, v42, s[0:3], 0 offen offset:132
	s_waitcnt vmcnt(4)
	v_add_f64 v[26:27], v[24:25], v[26:27]
	v_add_f64 v[24:25], v[24:25], -v[6:7]
	s_waitcnt vmcnt(2)
	v_add_f64 v[26:27], v[26:27], v[36:37]
	s_waitcnt vmcnt(0)
	v_add_f64 v[36:37], v[40:41], -v[6:7]
	v_cmp_ngt_f64_e64 s[6:7], 0, v[24:25]
	v_add_f64 v[26:27], v[26:27], v[40:41]
	v_cmp_ngt_f64_e32 vcc, 0, v[36:37]
	v_fma_f64 v[26:27], v[26:27], s[20:21], -v[6:7]
	v_cmp_ngt_f64_e64 s[4:5], 0, v[26:27]
	s_or_b64 s[4:5], vcc, s[4:5]
	s_or_b64 s[4:5], s[4:5], s[6:7]
	s_and_b64 exec, exec, s[4:5]
	s_cbranch_execz .LBB2_5
; %bb.124:                              ;   in Loop: Header=BB2_6 Depth=1
	v_cmp_le_f64_e32 vcc, 0, v[16:17]
	v_cmp_le_f64_e64 s[4:5], 0, v[14:15]
	v_cmp_le_f64_e64 s[6:7], 0, v[8:9]
	v_cmp_gt_f64_e64 s[8:9], 1.0, v[16:17]
	v_cmp_gt_f64_e64 s[10:11], 1.0, v[14:15]
	;; [unrolled: 1-line block ×3, first 2 shown]
	v_cmp_le_f64_e64 s[14:15], 0, v[22:23]
	v_cmp_le_f64_e64 s[16:17], 0, v[20:21]
	v_mov_b32_e32 v8, 8
	s_and_b64 s[4:5], vcc, s[4:5]
	s_and_b64 s[4:5], s[4:5], s[6:7]
	v_cmp_le_f64_e32 vcc, 0, v[18:19]
	s_and_b64 s[26:27], s[8:9], s[4:5]
	v_cmp_gt_f64_e64 s[4:5], 1.0, v[22:23]
	v_cmp_gt_f64_e64 s[6:7], 1.0, v[20:21]
	;; [unrolled: 1-line block ×3, first 2 shown]
	s_and_b64 s[10:11], s[26:27], s[10:11]
	s_and_b64 s[10:11], s[10:11], s[12:13]
	s_and_b64 s[10:11], s[14:15], s[10:11]
	s_and_b64 s[10:11], s[10:11], s[16:17]
	s_and_b64 s[10:11], s[10:11], vcc
	s_and_b64 s[4:5], s[4:5], s[10:11]
	s_and_b64 s[4:5], s[4:5], s[6:7]
	;; [unrolled: 1-line block ×3, first 2 shown]
	s_and_saveexec_b64 s[14:15], s[4:5]
	s_cbranch_execz .LBB2_4
; %bb.125:                              ;   in Loop: Header=BB2_6 Depth=1
	v_cmp_nge_f64_e32 vcc, v[36:37], v[34:35]
	v_cmp_nge_f64_e64 s[4:5], v[26:27], v[34:35]
	v_cmp_nge_f64_e64 s[6:7], v[24:25], v[34:35]
	v_mov_b32_e32 v8, 4
	s_or_b64 s[4:5], vcc, s[4:5]
	s_or_b64 s[4:5], s[4:5], s[6:7]
	s_and_saveexec_b64 s[16:17], s[4:5]
	s_cbranch_execz .LBB2_3
; %bb.126:                              ;   in Loop: Header=BB2_6 Depth=1
	v_cmp_le_f64_e32 vcc, 0, v[36:37]
	v_cmp_le_f64_e64 s[4:5], 0, v[26:27]
	v_cmp_le_f64_e64 s[6:7], 0, v[24:25]
	v_cmp_lt_f64_e64 s[8:9], v[36:37], v[34:35]
	v_cmp_lt_f64_e64 s[10:11], v[26:27], v[34:35]
	;; [unrolled: 1-line block ×3, first 2 shown]
	s_and_b64 s[4:5], vcc, s[4:5]
	s_and_b64 s[4:5], s[4:5], s[6:7]
	s_and_b64 s[4:5], s[8:9], s[4:5]
	s_and_b64 s[4:5], s[4:5], s[10:11]
	s_and_b64 vcc, s[4:5], s[12:13]
	v_cndmask_b32_e32 v8, v38, v39, vcc
	s_branch .LBB2_3
.LBB2_127:                              ;   in Loop: Header=BB2_6 Depth=1
	s_mov_b32 s10, 5
	s_mov_b32 s9, 7
	;; [unrolled: 1-line block ×7, first 2 shown]
	s_and_b64 vcc, exec, s[4:5]
	s_cbranch_vccnz .LBB2_118
	s_branch .LBB2_119
.LBB2_128:
	buffer_load_dword v8, off, s[0:3], 0 offset:8
	v_and_b32_e32 v9, 63, v28
	v_mul_u32_u24_e32 v67, 0xf8, v9
	v_mov_b32_e32 v14, 0x100
	s_waitcnt vmcnt(0)
	v_and_b32_e32 v9, 1, v8
	v_cmp_eq_u32_e32 vcc, 1, v9
	v_cndmask_b32_e32 v18, 0, v14, vcc
	v_cmp_eq_u32_e32 vcc, 0, v9
	v_cndmask_b32_e64 v19, 0, 1, vcc
	v_cmp_eq_u32_e32 vcc, 3, v9
	v_cndmask_b32_e32 v20, 0, v14, vcc
	v_cmp_eq_u32_e32 vcc, 2, v9
	v_cndmask_b32_e64 v21, 0, 1, vcc
	;; [unrolled: 4-line block ×11, first 2 shown]
	v_cmp_eq_u32_e32 vcc, 23, v9
	v_cndmask_b32_e32 v14, 0, v14, vcc
	v_cmp_eq_u32_e32 vcc, 22, v9
	v_bfe_u32 v16, v8, 1, 1
	v_cndmask_b32_e64 v48, 0, 1, vcc
	v_and_b32_e32 v15, 2, v8
	v_add_u32_e32 v9, v16, v9
	v_or_b32_e32 v16, v19, v18
	v_or_b32_sdwa v18, v21, v20 dst_sel:WORD_1 dst_unused:UNUSED_PAD src0_sel:DWORD src1_sel:DWORD
	v_or_b32_e32 v19, v23, v22
	v_or_b32_sdwa v20, v25, v24 dst_sel:WORD_1 dst_unused:UNUSED_PAD src0_sel:DWORD src1_sel:DWORD
	v_or_b32_e32 v21, v27, v26
	v_or_b32_sdwa v22, v37, v36 dst_sel:WORD_1 dst_unused:UNUSED_PAD src0_sel:DWORD src1_sel:DWORD
	v_or_b32_e32 v23, v39, v38
	v_or_b32_sdwa v24, v41, v40 dst_sel:WORD_1 dst_unused:UNUSED_PAD src0_sel:DWORD src1_sel:DWORD
	v_or_b32_e32 v25, v43, v42
	v_or_b32_sdwa v26, v45, v44 dst_sel:WORD_1 dst_unused:UNUSED_PAD src0_sel:DWORD src1_sel:DWORD
	v_or_b32_e32 v27, v47, v46
	v_or_b32_sdwa v14, v48, v14 dst_sel:WORD_1 dst_unused:UNUSED_PAD src0_sel:DWORD src1_sel:DWORD
	v_or_b32_sdwa v16, v16, v18 dst_sel:DWORD dst_unused:UNUSED_PAD src0_sel:WORD_0 src1_sel:DWORD
	v_or_b32_sdwa v18, v19, v20 dst_sel:DWORD dst_unused:UNUSED_PAD src0_sel:WORD_0 src1_sel:DWORD
	;; [unrolled: 1-line block ×6, first 2 shown]
	v_cmp_ne_u32_e32 vcc, 0, v15
	v_cndmask_b32_e32 v14, 0, v14, vcc
	v_cndmask_b32_e32 v15, 0, v21, vcc
	;; [unrolled: 1-line block ×6, first 2 shown]
	v_cmp_ne_u32_e32 vcc, 0, v9
	v_cndmask_b32_e32 v21, 2, v16, vcc
	v_lshrrev_b32_e32 v22, 8, v16
	v_cmp_ne_u32_e32 vcc, 1, v9
	v_cndmask_b32_e32 v22, 2, v22, vcc
	v_lshlrev_b16_e32 v22, 8, v22
	v_or_b32_sdwa v21, v21, v22 dst_sel:DWORD dst_unused:UNUSED_PAD src0_sel:BYTE_0 src1_sel:DWORD
	v_lshrrev_b32_e32 v22, 24, v16
	v_cmp_ne_u32_e32 vcc, 3, v9
	v_cndmask_b32_e32 v22, 2, v22, vcc
	v_lshrrev_b32_e32 v23, 16, v16
	v_cmp_ne_u32_e32 vcc, 2, v9
	v_lshlrev_b16_e32 v22, 8, v22
	v_cndmask_b32_e32 v23, 2, v23, vcc
	v_or_b32_sdwa v22, v23, v22 dst_sel:WORD_1 dst_unused:UNUSED_PAD src0_sel:BYTE_0 src1_sel:DWORD
	v_cmp_ne_u32_e32 vcc, 4, v9
	v_or_b32_sdwa v21, v21, v22 dst_sel:DWORD dst_unused:UNUSED_PAD src0_sel:WORD_0 src1_sel:DWORD
	v_cndmask_b32_e32 v22, 2, v18, vcc
	v_lshrrev_b32_e32 v23, 8, v18
	v_cmp_ne_u32_e32 vcc, 5, v9
	v_cndmask_b32_e32 v23, 2, v23, vcc
	v_lshlrev_b16_e32 v23, 8, v23
	v_or_b32_sdwa v22, v22, v23 dst_sel:DWORD dst_unused:UNUSED_PAD src0_sel:BYTE_0 src1_sel:DWORD
	v_lshrrev_b32_e32 v23, 24, v18
	v_cmp_ne_u32_e32 vcc, 7, v9
	v_cndmask_b32_e32 v23, 2, v23, vcc
	v_lshrrev_b32_e32 v24, 16, v18
	v_cmp_ne_u32_e32 vcc, 6, v9
	v_lshlrev_b16_e32 v23, 8, v23
	v_cndmask_b32_e32 v24, 2, v24, vcc
	v_or_b32_sdwa v23, v24, v23 dst_sel:WORD_1 dst_unused:UNUSED_PAD src0_sel:BYTE_0 src1_sel:DWORD
	v_cmp_ne_u32_e32 vcc, 8, v9
	v_or_b32_sdwa v22, v22, v23 dst_sel:DWORD dst_unused:UNUSED_PAD src0_sel:WORD_0 src1_sel:DWORD
	;; [unrolled: 16-line block ×5, first 2 shown]
	v_cndmask_b32_e32 v26, 2, v14, vcc
	v_lshrrev_b32_e32 v27, 8, v14
	v_cmp_ne_u32_e32 vcc, 21, v9
	v_cndmask_b32_e32 v27, 2, v27, vcc
	v_lshlrev_b16_e32 v27, 8, v27
	v_or_b32_sdwa v26, v26, v27 dst_sel:DWORD dst_unused:UNUSED_PAD src0_sel:BYTE_0 src1_sel:DWORD
	v_lshrrev_b32_e32 v27, 24, v14
	v_cmp_ne_u32_e32 vcc, 23, v9
	v_and_b32_e32 v17, 4, v8
	v_cndmask_b32_e32 v27, 2, v27, vcc
	v_lshrrev_b32_e32 v36, 16, v14
	v_cmp_ne_u32_e32 vcc, 22, v9
	v_lshlrev_b16_e32 v27, 8, v27
	v_cndmask_b32_e32 v36, 2, v36, vcc
	v_cmp_eq_u32_e32 vcc, 0, v17
	v_or_b32_sdwa v27, v36, v27 dst_sel:WORD_1 dst_unused:UNUSED_PAD src0_sel:BYTE_0 src1_sel:DWORD
	v_cndmask_b32_e32 v17, v24, v20, vcc
	v_bfe_u32 v20, v8, 2, 1
	v_or_b32_sdwa v26, v26, v27 dst_sel:DWORD dst_unused:UNUSED_PAD src0_sel:WORD_0 src1_sel:DWORD
	v_add_u32_e32 v9, v9, v20
	v_cndmask_b32_e32 v14, v26, v14, vcc
	v_cndmask_b32_e32 v15, v25, v15, vcc
	;; [unrolled: 1-line block ×5, first 2 shown]
	v_cmp_ne_u32_e32 vcc, 0, v9
	v_cndmask_b32_e32 v21, 3, v16, vcc
	v_lshrrev_b32_e32 v22, 8, v16
	v_cmp_ne_u32_e32 vcc, 1, v9
	v_cndmask_b32_e32 v22, 3, v22, vcc
	v_lshlrev_b16_e32 v22, 8, v22
	v_or_b32_sdwa v21, v21, v22 dst_sel:DWORD dst_unused:UNUSED_PAD src0_sel:BYTE_0 src1_sel:DWORD
	v_lshrrev_b32_e32 v22, 24, v16
	v_cmp_ne_u32_e32 vcc, 3, v9
	v_cndmask_b32_e32 v22, 3, v22, vcc
	v_lshrrev_b32_e32 v23, 16, v16
	v_cmp_ne_u32_e32 vcc, 2, v9
	v_lshlrev_b16_e32 v22, 8, v22
	v_cndmask_b32_e32 v23, 3, v23, vcc
	v_or_b32_sdwa v22, v23, v22 dst_sel:WORD_1 dst_unused:UNUSED_PAD src0_sel:BYTE_0 src1_sel:DWORD
	v_cmp_ne_u32_e32 vcc, 4, v9
	v_or_b32_sdwa v21, v21, v22 dst_sel:DWORD dst_unused:UNUSED_PAD src0_sel:WORD_0 src1_sel:DWORD
	v_cndmask_b32_e32 v22, 3, v18, vcc
	v_lshrrev_b32_e32 v23, 8, v18
	v_cmp_ne_u32_e32 vcc, 5, v9
	v_cndmask_b32_e32 v23, 3, v23, vcc
	v_lshlrev_b16_e32 v23, 8, v23
	v_or_b32_sdwa v22, v22, v23 dst_sel:DWORD dst_unused:UNUSED_PAD src0_sel:BYTE_0 src1_sel:DWORD
	v_lshrrev_b32_e32 v23, 24, v18
	v_cmp_ne_u32_e32 vcc, 7, v9
	v_cndmask_b32_e32 v23, 3, v23, vcc
	v_lshrrev_b32_e32 v24, 16, v18
	v_cmp_ne_u32_e32 vcc, 6, v9
	v_lshlrev_b16_e32 v23, 8, v23
	v_cndmask_b32_e32 v24, 3, v24, vcc
	v_or_b32_sdwa v23, v24, v23 dst_sel:WORD_1 dst_unused:UNUSED_PAD src0_sel:BYTE_0 src1_sel:DWORD
	v_cmp_ne_u32_e32 vcc, 8, v9
	v_or_b32_sdwa v22, v22, v23 dst_sel:DWORD dst_unused:UNUSED_PAD src0_sel:WORD_0 src1_sel:DWORD
	;; [unrolled: 16-line block ×5, first 2 shown]
	v_cndmask_b32_e32 v26, 3, v14, vcc
	v_lshrrev_b32_e32 v27, 8, v14
	v_cmp_ne_u32_e32 vcc, 21, v9
	v_cndmask_b32_e32 v27, 3, v27, vcc
	v_lshlrev_b16_e32 v27, 8, v27
	v_or_b32_sdwa v26, v26, v27 dst_sel:DWORD dst_unused:UNUSED_PAD src0_sel:BYTE_0 src1_sel:DWORD
	v_lshrrev_b32_e32 v27, 24, v14
	v_cmp_ne_u32_e32 vcc, 23, v9
	v_cndmask_b32_e32 v27, 3, v27, vcc
	v_lshrrev_b32_e32 v36, 16, v14
	v_cmp_ne_u32_e32 vcc, 22, v9
	v_and_b32_e32 v20, 8, v8
	v_lshlrev_b16_e32 v27, 8, v27
	v_cndmask_b32_e32 v36, 3, v36, vcc
	v_or_b32_sdwa v27, v36, v27 dst_sel:WORD_1 dst_unused:UNUSED_PAD src0_sel:BYTE_0 src1_sel:DWORD
	v_cmp_eq_u32_e32 vcc, 0, v20
	v_bfe_u32 v20, v8, 3, 1
	v_or_b32_sdwa v26, v26, v27 dst_sel:DWORD dst_unused:UNUSED_PAD src0_sel:WORD_0 src1_sel:DWORD
	v_add_u32_e32 v9, v9, v20
	v_cndmask_b32_e32 v14, v26, v14, vcc
	v_cndmask_b32_e32 v15, v25, v15, vcc
	;; [unrolled: 1-line block ×6, first 2 shown]
	v_cmp_ne_u32_e32 vcc, 0, v9
	v_cndmask_b32_e32 v21, 4, v16, vcc
	v_lshrrev_b32_e32 v22, 8, v16
	v_cmp_ne_u32_e32 vcc, 1, v9
	v_cndmask_b32_e32 v22, 4, v22, vcc
	v_lshlrev_b16_e32 v22, 8, v22
	v_or_b32_sdwa v21, v21, v22 dst_sel:DWORD dst_unused:UNUSED_PAD src0_sel:BYTE_0 src1_sel:DWORD
	v_lshrrev_b32_e32 v22, 24, v16
	v_cmp_ne_u32_e32 vcc, 3, v9
	v_cndmask_b32_e32 v22, 4, v22, vcc
	v_lshrrev_b32_e32 v23, 16, v16
	v_cmp_ne_u32_e32 vcc, 2, v9
	v_lshlrev_b16_e32 v22, 8, v22
	v_cndmask_b32_e32 v23, 4, v23, vcc
	v_or_b32_sdwa v22, v23, v22 dst_sel:WORD_1 dst_unused:UNUSED_PAD src0_sel:BYTE_0 src1_sel:DWORD
	v_cmp_ne_u32_e32 vcc, 4, v9
	v_or_b32_sdwa v21, v21, v22 dst_sel:DWORD dst_unused:UNUSED_PAD src0_sel:WORD_0 src1_sel:DWORD
	v_cndmask_b32_e32 v22, 4, v18, vcc
	v_lshrrev_b32_e32 v23, 8, v18
	v_cmp_ne_u32_e32 vcc, 5, v9
	v_cndmask_b32_e32 v23, 4, v23, vcc
	v_lshlrev_b16_e32 v23, 8, v23
	v_or_b32_sdwa v22, v22, v23 dst_sel:DWORD dst_unused:UNUSED_PAD src0_sel:BYTE_0 src1_sel:DWORD
	v_lshrrev_b32_e32 v23, 24, v18
	v_cmp_ne_u32_e32 vcc, 7, v9
	v_cndmask_b32_e32 v23, 4, v23, vcc
	v_lshrrev_b32_e32 v24, 16, v18
	v_cmp_ne_u32_e32 vcc, 6, v9
	v_lshlrev_b16_e32 v23, 8, v23
	v_cndmask_b32_e32 v24, 4, v24, vcc
	v_or_b32_sdwa v23, v24, v23 dst_sel:WORD_1 dst_unused:UNUSED_PAD src0_sel:BYTE_0 src1_sel:DWORD
	v_cmp_ne_u32_e32 vcc, 8, v9
	v_or_b32_sdwa v22, v22, v23 dst_sel:DWORD dst_unused:UNUSED_PAD src0_sel:WORD_0 src1_sel:DWORD
	;; [unrolled: 16-line block ×5, first 2 shown]
	v_cndmask_b32_e32 v26, 4, v14, vcc
	v_lshrrev_b32_e32 v27, 8, v14
	v_cmp_ne_u32_e32 vcc, 21, v9
	v_cndmask_b32_e32 v27, 4, v27, vcc
	v_lshlrev_b16_e32 v27, 8, v27
	v_or_b32_sdwa v26, v26, v27 dst_sel:DWORD dst_unused:UNUSED_PAD src0_sel:BYTE_0 src1_sel:DWORD
	v_lshrrev_b32_e32 v27, 24, v14
	v_cmp_ne_u32_e32 vcc, 23, v9
	v_cndmask_b32_e32 v27, 4, v27, vcc
	v_lshrrev_b32_e32 v36, 16, v14
	v_cmp_ne_u32_e32 vcc, 22, v9
	v_and_b32_e32 v20, 16, v8
	v_lshlrev_b16_e32 v27, 8, v27
	v_cndmask_b32_e32 v36, 4, v36, vcc
	v_or_b32_sdwa v27, v36, v27 dst_sel:WORD_1 dst_unused:UNUSED_PAD src0_sel:BYTE_0 src1_sel:DWORD
	v_cmp_eq_u32_e32 vcc, 0, v20
	v_bfe_u32 v20, v8, 4, 1
	v_or_b32_sdwa v26, v26, v27 dst_sel:DWORD dst_unused:UNUSED_PAD src0_sel:WORD_0 src1_sel:DWORD
	v_add_u32_e32 v9, v9, v20
	v_cndmask_b32_e32 v14, v26, v14, vcc
	v_cndmask_b32_e32 v15, v25, v15, vcc
	;; [unrolled: 1-line block ×6, first 2 shown]
	v_cmp_ne_u32_e32 vcc, 0, v9
	v_cndmask_b32_e32 v21, 5, v16, vcc
	v_lshrrev_b32_e32 v22, 8, v16
	v_cmp_ne_u32_e32 vcc, 1, v9
	v_cndmask_b32_e32 v22, 5, v22, vcc
	v_lshlrev_b16_e32 v22, 8, v22
	v_or_b32_sdwa v21, v21, v22 dst_sel:DWORD dst_unused:UNUSED_PAD src0_sel:BYTE_0 src1_sel:DWORD
	v_lshrrev_b32_e32 v22, 24, v16
	v_cmp_ne_u32_e32 vcc, 3, v9
	v_cndmask_b32_e32 v22, 5, v22, vcc
	v_lshrrev_b32_e32 v23, 16, v16
	v_cmp_ne_u32_e32 vcc, 2, v9
	v_lshlrev_b16_e32 v22, 8, v22
	v_cndmask_b32_e32 v23, 5, v23, vcc
	v_or_b32_sdwa v22, v23, v22 dst_sel:WORD_1 dst_unused:UNUSED_PAD src0_sel:BYTE_0 src1_sel:DWORD
	v_cmp_ne_u32_e32 vcc, 4, v9
	v_or_b32_sdwa v21, v21, v22 dst_sel:DWORD dst_unused:UNUSED_PAD src0_sel:WORD_0 src1_sel:DWORD
	v_cndmask_b32_e32 v22, 5, v18, vcc
	v_lshrrev_b32_e32 v23, 8, v18
	v_cmp_ne_u32_e32 vcc, 5, v9
	v_cndmask_b32_e32 v23, 5, v23, vcc
	v_lshlrev_b16_e32 v23, 8, v23
	v_or_b32_sdwa v22, v22, v23 dst_sel:DWORD dst_unused:UNUSED_PAD src0_sel:BYTE_0 src1_sel:DWORD
	v_lshrrev_b32_e32 v23, 24, v18
	v_cmp_ne_u32_e32 vcc, 7, v9
	v_cndmask_b32_e32 v23, 5, v23, vcc
	v_lshrrev_b32_e32 v24, 16, v18
	v_cmp_ne_u32_e32 vcc, 6, v9
	v_lshlrev_b16_e32 v23, 8, v23
	v_cndmask_b32_e32 v24, 5, v24, vcc
	v_or_b32_sdwa v23, v24, v23 dst_sel:WORD_1 dst_unused:UNUSED_PAD src0_sel:BYTE_0 src1_sel:DWORD
	v_cmp_ne_u32_e32 vcc, 8, v9
	v_or_b32_sdwa v22, v22, v23 dst_sel:DWORD dst_unused:UNUSED_PAD src0_sel:WORD_0 src1_sel:DWORD
	;; [unrolled: 16-line block ×5, first 2 shown]
	v_cndmask_b32_e32 v26, 5, v14, vcc
	v_lshrrev_b32_e32 v27, 8, v14
	v_cmp_ne_u32_e32 vcc, 21, v9
	v_cndmask_b32_e32 v27, 5, v27, vcc
	v_lshlrev_b16_e32 v27, 8, v27
	v_or_b32_sdwa v26, v26, v27 dst_sel:DWORD dst_unused:UNUSED_PAD src0_sel:BYTE_0 src1_sel:DWORD
	v_lshrrev_b32_e32 v27, 24, v14
	v_cmp_ne_u32_e32 vcc, 23, v9
	v_cndmask_b32_e32 v27, 5, v27, vcc
	v_lshrrev_b32_e32 v36, 16, v14
	v_cmp_ne_u32_e32 vcc, 22, v9
	v_and_b32_e32 v20, 32, v8
	v_lshlrev_b16_e32 v27, 8, v27
	v_cndmask_b32_e32 v36, 5, v36, vcc
	v_or_b32_sdwa v27, v36, v27 dst_sel:WORD_1 dst_unused:UNUSED_PAD src0_sel:BYTE_0 src1_sel:DWORD
	v_cmp_eq_u32_e32 vcc, 0, v20
	v_bfe_u32 v20, v8, 5, 1
	v_or_b32_sdwa v26, v26, v27 dst_sel:DWORD dst_unused:UNUSED_PAD src0_sel:WORD_0 src1_sel:DWORD
	v_add_u32_e32 v9, v9, v20
	v_cndmask_b32_e32 v14, v26, v14, vcc
	v_cndmask_b32_e32 v15, v25, v15, vcc
	;; [unrolled: 1-line block ×6, first 2 shown]
	v_cmp_ne_u32_e32 vcc, 0, v9
	v_cndmask_b32_e32 v21, 6, v16, vcc
	v_lshrrev_b32_e32 v22, 8, v16
	v_cmp_ne_u32_e32 vcc, 1, v9
	v_cndmask_b32_e32 v22, 6, v22, vcc
	v_lshlrev_b16_e32 v22, 8, v22
	v_or_b32_sdwa v21, v21, v22 dst_sel:DWORD dst_unused:UNUSED_PAD src0_sel:BYTE_0 src1_sel:DWORD
	v_lshrrev_b32_e32 v22, 24, v16
	v_cmp_ne_u32_e32 vcc, 3, v9
	v_cndmask_b32_e32 v22, 6, v22, vcc
	v_lshrrev_b32_e32 v23, 16, v16
	v_cmp_ne_u32_e32 vcc, 2, v9
	v_lshlrev_b16_e32 v22, 8, v22
	v_cndmask_b32_e32 v23, 6, v23, vcc
	v_or_b32_sdwa v22, v23, v22 dst_sel:WORD_1 dst_unused:UNUSED_PAD src0_sel:BYTE_0 src1_sel:DWORD
	v_cmp_ne_u32_e32 vcc, 4, v9
	v_or_b32_sdwa v21, v21, v22 dst_sel:DWORD dst_unused:UNUSED_PAD src0_sel:WORD_0 src1_sel:DWORD
	v_cndmask_b32_e32 v22, 6, v18, vcc
	v_lshrrev_b32_e32 v23, 8, v18
	v_cmp_ne_u32_e32 vcc, 5, v9
	v_cndmask_b32_e32 v23, 6, v23, vcc
	v_lshlrev_b16_e32 v23, 8, v23
	v_or_b32_sdwa v22, v22, v23 dst_sel:DWORD dst_unused:UNUSED_PAD src0_sel:BYTE_0 src1_sel:DWORD
	v_lshrrev_b32_e32 v23, 24, v18
	v_cmp_ne_u32_e32 vcc, 7, v9
	v_cndmask_b32_e32 v23, 6, v23, vcc
	v_lshrrev_b32_e32 v24, 16, v18
	v_cmp_ne_u32_e32 vcc, 6, v9
	v_lshlrev_b16_e32 v23, 8, v23
	v_cndmask_b32_e32 v24, 6, v24, vcc
	v_or_b32_sdwa v23, v24, v23 dst_sel:WORD_1 dst_unused:UNUSED_PAD src0_sel:BYTE_0 src1_sel:DWORD
	v_cmp_ne_u32_e32 vcc, 8, v9
	v_or_b32_sdwa v22, v22, v23 dst_sel:DWORD dst_unused:UNUSED_PAD src0_sel:WORD_0 src1_sel:DWORD
	;; [unrolled: 16-line block ×5, first 2 shown]
	v_cndmask_b32_e32 v26, 6, v14, vcc
	v_lshrrev_b32_e32 v27, 8, v14
	v_cmp_ne_u32_e32 vcc, 21, v9
	v_cndmask_b32_e32 v27, 6, v27, vcc
	v_lshlrev_b16_e32 v27, 8, v27
	v_or_b32_sdwa v26, v26, v27 dst_sel:DWORD dst_unused:UNUSED_PAD src0_sel:BYTE_0 src1_sel:DWORD
	v_lshrrev_b32_e32 v27, 24, v14
	v_cmp_ne_u32_e32 vcc, 23, v9
	v_cndmask_b32_e32 v27, 6, v27, vcc
	v_lshrrev_b32_e32 v36, 16, v14
	v_cmp_ne_u32_e32 vcc, 22, v9
	v_and_b32_e32 v20, 64, v8
	v_lshlrev_b16_e32 v27, 8, v27
	v_cndmask_b32_e32 v36, 6, v36, vcc
	v_or_b32_sdwa v27, v36, v27 dst_sel:WORD_1 dst_unused:UNUSED_PAD src0_sel:BYTE_0 src1_sel:DWORD
	v_cmp_eq_u32_e32 vcc, 0, v20
	v_bfe_u32 v20, v8, 6, 1
	v_or_b32_sdwa v26, v26, v27 dst_sel:DWORD dst_unused:UNUSED_PAD src0_sel:WORD_0 src1_sel:DWORD
	v_add_u32_e32 v9, v9, v20
	v_cndmask_b32_e32 v14, v26, v14, vcc
	v_cndmask_b32_e32 v15, v25, v15, vcc
	;; [unrolled: 1-line block ×6, first 2 shown]
	v_cmp_ne_u32_e32 vcc, 0, v9
	v_cndmask_b32_e32 v21, 7, v16, vcc
	v_lshrrev_b32_e32 v22, 8, v16
	v_cmp_ne_u32_e32 vcc, 1, v9
	v_cndmask_b32_e32 v22, 7, v22, vcc
	v_lshlrev_b16_e32 v22, 8, v22
	v_or_b32_sdwa v21, v21, v22 dst_sel:DWORD dst_unused:UNUSED_PAD src0_sel:BYTE_0 src1_sel:DWORD
	v_lshrrev_b32_e32 v22, 24, v16
	v_cmp_ne_u32_e32 vcc, 3, v9
	v_cndmask_b32_e32 v22, 7, v22, vcc
	v_lshrrev_b32_e32 v23, 16, v16
	v_cmp_ne_u32_e32 vcc, 2, v9
	v_lshlrev_b16_e32 v22, 8, v22
	v_cndmask_b32_e32 v23, 7, v23, vcc
	v_or_b32_sdwa v22, v23, v22 dst_sel:WORD_1 dst_unused:UNUSED_PAD src0_sel:BYTE_0 src1_sel:DWORD
	v_cmp_ne_u32_e32 vcc, 4, v9
	v_or_b32_sdwa v21, v21, v22 dst_sel:DWORD dst_unused:UNUSED_PAD src0_sel:WORD_0 src1_sel:DWORD
	v_cndmask_b32_e32 v22, 7, v18, vcc
	v_lshrrev_b32_e32 v23, 8, v18
	v_cmp_ne_u32_e32 vcc, 5, v9
	v_cndmask_b32_e32 v23, 7, v23, vcc
	v_lshlrev_b16_e32 v23, 8, v23
	v_or_b32_sdwa v22, v22, v23 dst_sel:DWORD dst_unused:UNUSED_PAD src0_sel:BYTE_0 src1_sel:DWORD
	v_lshrrev_b32_e32 v23, 24, v18
	v_cmp_ne_u32_e32 vcc, 7, v9
	v_cndmask_b32_e32 v23, 7, v23, vcc
	v_lshrrev_b32_e32 v24, 16, v18
	v_cmp_ne_u32_e32 vcc, 6, v9
	v_lshlrev_b16_e32 v23, 8, v23
	v_cndmask_b32_e32 v24, 7, v24, vcc
	v_or_b32_sdwa v23, v24, v23 dst_sel:WORD_1 dst_unused:UNUSED_PAD src0_sel:BYTE_0 src1_sel:DWORD
	v_cmp_ne_u32_e32 vcc, 8, v9
	v_or_b32_sdwa v22, v22, v23 dst_sel:DWORD dst_unused:UNUSED_PAD src0_sel:WORD_0 src1_sel:DWORD
	;; [unrolled: 16-line block ×5, first 2 shown]
	v_cndmask_b32_e32 v26, 7, v14, vcc
	v_lshrrev_b32_e32 v27, 8, v14
	v_cmp_ne_u32_e32 vcc, 21, v9
	v_cndmask_b32_e32 v27, 7, v27, vcc
	v_lshlrev_b16_e32 v27, 8, v27
	v_or_b32_sdwa v26, v26, v27 dst_sel:DWORD dst_unused:UNUSED_PAD src0_sel:BYTE_0 src1_sel:DWORD
	v_lshrrev_b32_e32 v27, 24, v14
	v_cmp_ne_u32_e32 vcc, 23, v9
	v_cndmask_b32_e32 v27, 7, v27, vcc
	v_lshrrev_b32_e32 v36, 16, v14
	v_cmp_ne_u32_e32 vcc, 22, v9
	v_and_b32_e32 v20, 0x80, v8
	v_lshlrev_b16_e32 v27, 8, v27
	v_cndmask_b32_e32 v36, 7, v36, vcc
	v_or_b32_sdwa v27, v36, v27 dst_sel:WORD_1 dst_unused:UNUSED_PAD src0_sel:BYTE_0 src1_sel:DWORD
	v_cmp_eq_u32_e32 vcc, 0, v20
	v_bfe_u32 v20, v8, 7, 1
	v_or_b32_sdwa v26, v26, v27 dst_sel:DWORD dst_unused:UNUSED_PAD src0_sel:WORD_0 src1_sel:DWORD
	v_add_u32_e32 v9, v9, v20
	v_cndmask_b32_e32 v14, v26, v14, vcc
	v_cndmask_b32_e32 v15, v25, v15, vcc
	;; [unrolled: 1-line block ×6, first 2 shown]
	v_cmp_ne_u32_e32 vcc, 0, v9
	v_cndmask_b32_e32 v21, 8, v16, vcc
	v_lshrrev_b32_e32 v22, 8, v16
	v_cmp_ne_u32_e32 vcc, 1, v9
	v_cndmask_b32_e32 v22, 8, v22, vcc
	v_lshlrev_b16_e32 v22, 8, v22
	v_or_b32_sdwa v21, v21, v22 dst_sel:DWORD dst_unused:UNUSED_PAD src0_sel:BYTE_0 src1_sel:DWORD
	v_lshrrev_b32_e32 v22, 24, v16
	v_cmp_ne_u32_e32 vcc, 3, v9
	v_cndmask_b32_e32 v22, 8, v22, vcc
	v_lshrrev_b32_e32 v23, 16, v16
	v_cmp_ne_u32_e32 vcc, 2, v9
	v_lshlrev_b16_e32 v22, 8, v22
	v_cndmask_b32_e32 v23, 8, v23, vcc
	v_or_b32_sdwa v22, v23, v22 dst_sel:WORD_1 dst_unused:UNUSED_PAD src0_sel:BYTE_0 src1_sel:DWORD
	v_cmp_ne_u32_e32 vcc, 4, v9
	v_or_b32_sdwa v21, v21, v22 dst_sel:DWORD dst_unused:UNUSED_PAD src0_sel:WORD_0 src1_sel:DWORD
	v_cndmask_b32_e32 v22, 8, v18, vcc
	v_lshrrev_b32_e32 v23, 8, v18
	v_cmp_ne_u32_e32 vcc, 5, v9
	v_cndmask_b32_e32 v23, 8, v23, vcc
	v_lshlrev_b16_e32 v23, 8, v23
	v_or_b32_sdwa v22, v22, v23 dst_sel:DWORD dst_unused:UNUSED_PAD src0_sel:BYTE_0 src1_sel:DWORD
	v_lshrrev_b32_e32 v23, 24, v18
	v_cmp_ne_u32_e32 vcc, 7, v9
	v_cndmask_b32_e32 v23, 8, v23, vcc
	v_lshrrev_b32_e32 v24, 16, v18
	v_cmp_ne_u32_e32 vcc, 6, v9
	v_lshlrev_b16_e32 v23, 8, v23
	v_cndmask_b32_e32 v24, 8, v24, vcc
	v_or_b32_sdwa v23, v24, v23 dst_sel:WORD_1 dst_unused:UNUSED_PAD src0_sel:BYTE_0 src1_sel:DWORD
	v_cmp_ne_u32_e32 vcc, 8, v9
	v_or_b32_sdwa v22, v22, v23 dst_sel:DWORD dst_unused:UNUSED_PAD src0_sel:WORD_0 src1_sel:DWORD
	;; [unrolled: 16-line block ×5, first 2 shown]
	v_cndmask_b32_e32 v26, 8, v14, vcc
	v_lshrrev_b32_e32 v27, 8, v14
	v_cmp_ne_u32_e32 vcc, 21, v9
	v_cndmask_b32_e32 v27, 8, v27, vcc
	v_lshlrev_b16_e32 v27, 8, v27
	v_or_b32_sdwa v26, v26, v27 dst_sel:DWORD dst_unused:UNUSED_PAD src0_sel:BYTE_0 src1_sel:DWORD
	v_lshrrev_b32_e32 v27, 24, v14
	v_cmp_ne_u32_e32 vcc, 23, v9
	v_cndmask_b32_e32 v27, 8, v27, vcc
	v_lshrrev_b32_e32 v36, 16, v14
	v_cmp_ne_u32_e32 vcc, 22, v9
	v_and_b32_e32 v20, 0x100, v8
	v_lshlrev_b16_e32 v27, 8, v27
	v_cndmask_b32_e32 v36, 8, v36, vcc
	v_or_b32_sdwa v27, v36, v27 dst_sel:WORD_1 dst_unused:UNUSED_PAD src0_sel:BYTE_0 src1_sel:DWORD
	v_cmp_eq_u32_e32 vcc, 0, v20
	v_bfe_u32 v20, v8, 8, 1
	v_or_b32_sdwa v26, v26, v27 dst_sel:DWORD dst_unused:UNUSED_PAD src0_sel:WORD_0 src1_sel:DWORD
	v_add_u32_e32 v9, v9, v20
	v_cndmask_b32_e32 v14, v26, v14, vcc
	v_cndmask_b32_e32 v15, v25, v15, vcc
	;; [unrolled: 1-line block ×6, first 2 shown]
	v_cmp_ne_u32_e32 vcc, 0, v9
	v_cndmask_b32_e32 v21, 9, v16, vcc
	v_lshrrev_b32_e32 v22, 8, v16
	v_cmp_ne_u32_e32 vcc, 1, v9
	v_cndmask_b32_e32 v22, 9, v22, vcc
	v_lshlrev_b16_e32 v22, 8, v22
	v_or_b32_sdwa v21, v21, v22 dst_sel:DWORD dst_unused:UNUSED_PAD src0_sel:BYTE_0 src1_sel:DWORD
	v_lshrrev_b32_e32 v22, 24, v16
	v_cmp_ne_u32_e32 vcc, 3, v9
	v_cndmask_b32_e32 v22, 9, v22, vcc
	v_lshrrev_b32_e32 v23, 16, v16
	v_cmp_ne_u32_e32 vcc, 2, v9
	v_lshlrev_b16_e32 v22, 8, v22
	v_cndmask_b32_e32 v23, 9, v23, vcc
	v_or_b32_sdwa v22, v23, v22 dst_sel:WORD_1 dst_unused:UNUSED_PAD src0_sel:BYTE_0 src1_sel:DWORD
	v_cmp_ne_u32_e32 vcc, 4, v9
	v_or_b32_sdwa v21, v21, v22 dst_sel:DWORD dst_unused:UNUSED_PAD src0_sel:WORD_0 src1_sel:DWORD
	v_cndmask_b32_e32 v22, 9, v18, vcc
	v_lshrrev_b32_e32 v23, 8, v18
	v_cmp_ne_u32_e32 vcc, 5, v9
	v_cndmask_b32_e32 v23, 9, v23, vcc
	v_lshlrev_b16_e32 v23, 8, v23
	v_or_b32_sdwa v22, v22, v23 dst_sel:DWORD dst_unused:UNUSED_PAD src0_sel:BYTE_0 src1_sel:DWORD
	v_lshrrev_b32_e32 v23, 24, v18
	v_cmp_ne_u32_e32 vcc, 7, v9
	v_cndmask_b32_e32 v23, 9, v23, vcc
	v_lshrrev_b32_e32 v24, 16, v18
	v_cmp_ne_u32_e32 vcc, 6, v9
	v_lshlrev_b16_e32 v23, 8, v23
	v_cndmask_b32_e32 v24, 9, v24, vcc
	v_or_b32_sdwa v23, v24, v23 dst_sel:WORD_1 dst_unused:UNUSED_PAD src0_sel:BYTE_0 src1_sel:DWORD
	v_cmp_ne_u32_e32 vcc, 8, v9
	v_or_b32_sdwa v22, v22, v23 dst_sel:DWORD dst_unused:UNUSED_PAD src0_sel:WORD_0 src1_sel:DWORD
	;; [unrolled: 16-line block ×5, first 2 shown]
	v_cndmask_b32_e32 v26, 9, v14, vcc
	v_lshrrev_b32_e32 v27, 8, v14
	v_cmp_ne_u32_e32 vcc, 21, v9
	v_cndmask_b32_e32 v27, 9, v27, vcc
	v_lshlrev_b16_e32 v27, 8, v27
	v_or_b32_sdwa v26, v26, v27 dst_sel:DWORD dst_unused:UNUSED_PAD src0_sel:BYTE_0 src1_sel:DWORD
	v_lshrrev_b32_e32 v27, 24, v14
	v_cmp_ne_u32_e32 vcc, 23, v9
	v_cndmask_b32_e32 v27, 9, v27, vcc
	v_lshrrev_b32_e32 v36, 16, v14
	v_cmp_ne_u32_e32 vcc, 22, v9
	v_and_b32_e32 v20, 0x200, v8
	v_lshlrev_b16_e32 v27, 8, v27
	v_cndmask_b32_e32 v36, 9, v36, vcc
	v_or_b32_sdwa v27, v36, v27 dst_sel:WORD_1 dst_unused:UNUSED_PAD src0_sel:BYTE_0 src1_sel:DWORD
	v_cmp_eq_u32_e32 vcc, 0, v20
	v_bfe_u32 v20, v8, 9, 1
	v_or_b32_sdwa v26, v26, v27 dst_sel:DWORD dst_unused:UNUSED_PAD src0_sel:WORD_0 src1_sel:DWORD
	v_add_u32_e32 v9, v9, v20
	v_cndmask_b32_e32 v14, v26, v14, vcc
	v_cndmask_b32_e32 v15, v25, v15, vcc
	;; [unrolled: 1-line block ×6, first 2 shown]
	v_cmp_ne_u32_e32 vcc, 0, v9
	v_cndmask_b32_e32 v21, 10, v16, vcc
	v_lshrrev_b32_e32 v22, 8, v16
	v_cmp_ne_u32_e32 vcc, 1, v9
	v_cndmask_b32_e32 v22, 10, v22, vcc
	v_lshlrev_b16_e32 v22, 8, v22
	v_or_b32_sdwa v21, v21, v22 dst_sel:DWORD dst_unused:UNUSED_PAD src0_sel:BYTE_0 src1_sel:DWORD
	v_lshrrev_b32_e32 v22, 24, v16
	v_cmp_ne_u32_e32 vcc, 3, v9
	v_cndmask_b32_e32 v22, 10, v22, vcc
	v_lshrrev_b32_e32 v23, 16, v16
	v_cmp_ne_u32_e32 vcc, 2, v9
	v_lshlrev_b16_e32 v22, 8, v22
	v_cndmask_b32_e32 v23, 10, v23, vcc
	v_or_b32_sdwa v22, v23, v22 dst_sel:WORD_1 dst_unused:UNUSED_PAD src0_sel:BYTE_0 src1_sel:DWORD
	v_cmp_ne_u32_e32 vcc, 4, v9
	v_or_b32_sdwa v21, v21, v22 dst_sel:DWORD dst_unused:UNUSED_PAD src0_sel:WORD_0 src1_sel:DWORD
	v_cndmask_b32_e32 v22, 10, v18, vcc
	v_lshrrev_b32_e32 v23, 8, v18
	v_cmp_ne_u32_e32 vcc, 5, v9
	v_cndmask_b32_e32 v23, 10, v23, vcc
	v_lshlrev_b16_e32 v23, 8, v23
	v_or_b32_sdwa v22, v22, v23 dst_sel:DWORD dst_unused:UNUSED_PAD src0_sel:BYTE_0 src1_sel:DWORD
	v_lshrrev_b32_e32 v23, 24, v18
	v_cmp_ne_u32_e32 vcc, 7, v9
	v_cndmask_b32_e32 v23, 10, v23, vcc
	v_lshrrev_b32_e32 v24, 16, v18
	v_cmp_ne_u32_e32 vcc, 6, v9
	v_lshlrev_b16_e32 v23, 8, v23
	v_cndmask_b32_e32 v24, 10, v24, vcc
	v_or_b32_sdwa v23, v24, v23 dst_sel:WORD_1 dst_unused:UNUSED_PAD src0_sel:BYTE_0 src1_sel:DWORD
	v_cmp_ne_u32_e32 vcc, 8, v9
	v_or_b32_sdwa v22, v22, v23 dst_sel:DWORD dst_unused:UNUSED_PAD src0_sel:WORD_0 src1_sel:DWORD
	;; [unrolled: 16-line block ×5, first 2 shown]
	v_cndmask_b32_e32 v26, 10, v14, vcc
	v_lshrrev_b32_e32 v27, 8, v14
	v_cmp_ne_u32_e32 vcc, 21, v9
	v_cndmask_b32_e32 v27, 10, v27, vcc
	v_lshlrev_b16_e32 v27, 8, v27
	v_or_b32_sdwa v26, v26, v27 dst_sel:DWORD dst_unused:UNUSED_PAD src0_sel:BYTE_0 src1_sel:DWORD
	v_lshrrev_b32_e32 v27, 24, v14
	v_cmp_ne_u32_e32 vcc, 23, v9
	v_cndmask_b32_e32 v27, 10, v27, vcc
	v_lshrrev_b32_e32 v36, 16, v14
	v_cmp_ne_u32_e32 vcc, 22, v9
	v_and_b32_e32 v20, 0x400, v8
	v_lshlrev_b16_e32 v27, 8, v27
	v_cndmask_b32_e32 v36, 10, v36, vcc
	v_or_b32_sdwa v27, v36, v27 dst_sel:WORD_1 dst_unused:UNUSED_PAD src0_sel:BYTE_0 src1_sel:DWORD
	v_cmp_eq_u32_e32 vcc, 0, v20
	v_bfe_u32 v20, v8, 10, 1
	v_or_b32_sdwa v26, v26, v27 dst_sel:DWORD dst_unused:UNUSED_PAD src0_sel:WORD_0 src1_sel:DWORD
	v_add_u32_e32 v9, v9, v20
	v_cndmask_b32_e32 v14, v26, v14, vcc
	v_cndmask_b32_e32 v15, v25, v15, vcc
	;; [unrolled: 1-line block ×6, first 2 shown]
	v_cmp_ne_u32_e32 vcc, 0, v9
	v_cndmask_b32_e32 v21, 11, v16, vcc
	v_lshrrev_b32_e32 v22, 8, v16
	v_cmp_ne_u32_e32 vcc, 1, v9
	v_cndmask_b32_e32 v22, 11, v22, vcc
	v_lshlrev_b16_e32 v22, 8, v22
	v_or_b32_sdwa v21, v21, v22 dst_sel:DWORD dst_unused:UNUSED_PAD src0_sel:BYTE_0 src1_sel:DWORD
	v_lshrrev_b32_e32 v22, 24, v16
	v_cmp_ne_u32_e32 vcc, 3, v9
	v_cndmask_b32_e32 v22, 11, v22, vcc
	v_lshrrev_b32_e32 v23, 16, v16
	v_cmp_ne_u32_e32 vcc, 2, v9
	v_lshlrev_b16_e32 v22, 8, v22
	v_cndmask_b32_e32 v23, 11, v23, vcc
	v_or_b32_sdwa v22, v23, v22 dst_sel:WORD_1 dst_unused:UNUSED_PAD src0_sel:BYTE_0 src1_sel:DWORD
	v_cmp_ne_u32_e32 vcc, 4, v9
	v_or_b32_sdwa v21, v21, v22 dst_sel:DWORD dst_unused:UNUSED_PAD src0_sel:WORD_0 src1_sel:DWORD
	v_cndmask_b32_e32 v22, 11, v18, vcc
	v_lshrrev_b32_e32 v23, 8, v18
	v_cmp_ne_u32_e32 vcc, 5, v9
	v_cndmask_b32_e32 v23, 11, v23, vcc
	v_lshlrev_b16_e32 v23, 8, v23
	v_or_b32_sdwa v22, v22, v23 dst_sel:DWORD dst_unused:UNUSED_PAD src0_sel:BYTE_0 src1_sel:DWORD
	v_lshrrev_b32_e32 v23, 24, v18
	v_cmp_ne_u32_e32 vcc, 7, v9
	v_cndmask_b32_e32 v23, 11, v23, vcc
	v_lshrrev_b32_e32 v24, 16, v18
	v_cmp_ne_u32_e32 vcc, 6, v9
	v_lshlrev_b16_e32 v23, 8, v23
	v_cndmask_b32_e32 v24, 11, v24, vcc
	v_or_b32_sdwa v23, v24, v23 dst_sel:WORD_1 dst_unused:UNUSED_PAD src0_sel:BYTE_0 src1_sel:DWORD
	v_cmp_ne_u32_e32 vcc, 8, v9
	v_or_b32_sdwa v22, v22, v23 dst_sel:DWORD dst_unused:UNUSED_PAD src0_sel:WORD_0 src1_sel:DWORD
	;; [unrolled: 16-line block ×5, first 2 shown]
	v_cndmask_b32_e32 v26, 11, v14, vcc
	v_lshrrev_b32_e32 v27, 8, v14
	v_cmp_ne_u32_e32 vcc, 21, v9
	v_cndmask_b32_e32 v27, 11, v27, vcc
	v_lshlrev_b16_e32 v27, 8, v27
	v_or_b32_sdwa v26, v26, v27 dst_sel:DWORD dst_unused:UNUSED_PAD src0_sel:BYTE_0 src1_sel:DWORD
	v_lshrrev_b32_e32 v27, 24, v14
	v_cmp_ne_u32_e32 vcc, 23, v9
	v_cndmask_b32_e32 v27, 11, v27, vcc
	v_lshrrev_b32_e32 v36, 16, v14
	v_cmp_ne_u32_e32 vcc, 22, v9
	v_and_b32_e32 v20, 0x800, v8
	v_lshlrev_b16_e32 v27, 8, v27
	v_cndmask_b32_e32 v36, 11, v36, vcc
	v_or_b32_sdwa v27, v36, v27 dst_sel:WORD_1 dst_unused:UNUSED_PAD src0_sel:BYTE_0 src1_sel:DWORD
	v_cmp_eq_u32_e32 vcc, 0, v20
	v_bfe_u32 v20, v8, 11, 1
	v_or_b32_sdwa v26, v26, v27 dst_sel:DWORD dst_unused:UNUSED_PAD src0_sel:WORD_0 src1_sel:DWORD
	v_add_u32_e32 v9, v9, v20
	v_cndmask_b32_e32 v14, v26, v14, vcc
	v_cndmask_b32_e32 v15, v25, v15, vcc
	;; [unrolled: 1-line block ×6, first 2 shown]
	v_cmp_ne_u32_e32 vcc, 0, v9
	v_cndmask_b32_e32 v21, 12, v16, vcc
	v_lshrrev_b32_e32 v22, 8, v16
	v_cmp_ne_u32_e32 vcc, 1, v9
	v_cndmask_b32_e32 v22, 12, v22, vcc
	v_lshlrev_b16_e32 v22, 8, v22
	v_or_b32_sdwa v21, v21, v22 dst_sel:DWORD dst_unused:UNUSED_PAD src0_sel:BYTE_0 src1_sel:DWORD
	v_lshrrev_b32_e32 v22, 24, v16
	v_cmp_ne_u32_e32 vcc, 3, v9
	v_cndmask_b32_e32 v22, 12, v22, vcc
	v_lshrrev_b32_e32 v23, 16, v16
	v_cmp_ne_u32_e32 vcc, 2, v9
	v_lshlrev_b16_e32 v22, 8, v22
	v_cndmask_b32_e32 v23, 12, v23, vcc
	v_or_b32_sdwa v22, v23, v22 dst_sel:WORD_1 dst_unused:UNUSED_PAD src0_sel:BYTE_0 src1_sel:DWORD
	v_cmp_ne_u32_e32 vcc, 4, v9
	v_or_b32_sdwa v21, v21, v22 dst_sel:DWORD dst_unused:UNUSED_PAD src0_sel:WORD_0 src1_sel:DWORD
	v_cndmask_b32_e32 v22, 12, v18, vcc
	v_lshrrev_b32_e32 v23, 8, v18
	v_cmp_ne_u32_e32 vcc, 5, v9
	v_cndmask_b32_e32 v23, 12, v23, vcc
	v_lshlrev_b16_e32 v23, 8, v23
	v_or_b32_sdwa v22, v22, v23 dst_sel:DWORD dst_unused:UNUSED_PAD src0_sel:BYTE_0 src1_sel:DWORD
	v_lshrrev_b32_e32 v23, 24, v18
	v_cmp_ne_u32_e32 vcc, 7, v9
	v_cndmask_b32_e32 v23, 12, v23, vcc
	v_lshrrev_b32_e32 v24, 16, v18
	v_cmp_ne_u32_e32 vcc, 6, v9
	v_lshlrev_b16_e32 v23, 8, v23
	v_cndmask_b32_e32 v24, 12, v24, vcc
	v_or_b32_sdwa v23, v24, v23 dst_sel:WORD_1 dst_unused:UNUSED_PAD src0_sel:BYTE_0 src1_sel:DWORD
	v_cmp_ne_u32_e32 vcc, 8, v9
	v_or_b32_sdwa v22, v22, v23 dst_sel:DWORD dst_unused:UNUSED_PAD src0_sel:WORD_0 src1_sel:DWORD
	;; [unrolled: 16-line block ×5, first 2 shown]
	v_cndmask_b32_e32 v26, 12, v14, vcc
	v_lshrrev_b32_e32 v27, 8, v14
	v_cmp_ne_u32_e32 vcc, 21, v9
	v_cndmask_b32_e32 v27, 12, v27, vcc
	v_lshlrev_b16_e32 v27, 8, v27
	v_or_b32_sdwa v26, v26, v27 dst_sel:DWORD dst_unused:UNUSED_PAD src0_sel:BYTE_0 src1_sel:DWORD
	v_lshrrev_b32_e32 v27, 24, v14
	v_cmp_ne_u32_e32 vcc, 23, v9
	v_cndmask_b32_e32 v27, 12, v27, vcc
	v_lshrrev_b32_e32 v36, 16, v14
	v_cmp_ne_u32_e32 vcc, 22, v9
	v_and_b32_e32 v20, 0x1000, v8
	v_lshlrev_b16_e32 v27, 8, v27
	v_cndmask_b32_e32 v36, 12, v36, vcc
	v_or_b32_sdwa v27, v36, v27 dst_sel:WORD_1 dst_unused:UNUSED_PAD src0_sel:BYTE_0 src1_sel:DWORD
	v_cmp_eq_u32_e32 vcc, 0, v20
	v_bfe_u32 v20, v8, 12, 1
	v_or_b32_sdwa v26, v26, v27 dst_sel:DWORD dst_unused:UNUSED_PAD src0_sel:WORD_0 src1_sel:DWORD
	v_add_u32_e32 v9, v9, v20
	v_cndmask_b32_e32 v14, v26, v14, vcc
	v_cndmask_b32_e32 v15, v25, v15, vcc
	;; [unrolled: 1-line block ×6, first 2 shown]
	v_cmp_ne_u32_e32 vcc, 0, v9
	v_cndmask_b32_e32 v21, 13, v16, vcc
	v_lshrrev_b32_e32 v22, 8, v16
	v_cmp_ne_u32_e32 vcc, 1, v9
	v_cndmask_b32_e32 v22, 13, v22, vcc
	v_lshlrev_b16_e32 v22, 8, v22
	v_or_b32_sdwa v21, v21, v22 dst_sel:DWORD dst_unused:UNUSED_PAD src0_sel:BYTE_0 src1_sel:DWORD
	v_lshrrev_b32_e32 v22, 24, v16
	v_cmp_ne_u32_e32 vcc, 3, v9
	v_cndmask_b32_e32 v22, 13, v22, vcc
	v_lshrrev_b32_e32 v23, 16, v16
	v_cmp_ne_u32_e32 vcc, 2, v9
	v_lshlrev_b16_e32 v22, 8, v22
	v_cndmask_b32_e32 v23, 13, v23, vcc
	v_or_b32_sdwa v22, v23, v22 dst_sel:WORD_1 dst_unused:UNUSED_PAD src0_sel:BYTE_0 src1_sel:DWORD
	v_cmp_ne_u32_e32 vcc, 4, v9
	v_or_b32_sdwa v21, v21, v22 dst_sel:DWORD dst_unused:UNUSED_PAD src0_sel:WORD_0 src1_sel:DWORD
	v_cndmask_b32_e32 v22, 13, v18, vcc
	v_lshrrev_b32_e32 v23, 8, v18
	v_cmp_ne_u32_e32 vcc, 5, v9
	v_cndmask_b32_e32 v23, 13, v23, vcc
	v_lshlrev_b16_e32 v23, 8, v23
	v_or_b32_sdwa v22, v22, v23 dst_sel:DWORD dst_unused:UNUSED_PAD src0_sel:BYTE_0 src1_sel:DWORD
	v_lshrrev_b32_e32 v23, 24, v18
	v_cmp_ne_u32_e32 vcc, 7, v9
	v_cndmask_b32_e32 v23, 13, v23, vcc
	v_lshrrev_b32_e32 v24, 16, v18
	v_cmp_ne_u32_e32 vcc, 6, v9
	v_lshlrev_b16_e32 v23, 8, v23
	v_cndmask_b32_e32 v24, 13, v24, vcc
	v_or_b32_sdwa v23, v24, v23 dst_sel:WORD_1 dst_unused:UNUSED_PAD src0_sel:BYTE_0 src1_sel:DWORD
	v_cmp_ne_u32_e32 vcc, 8, v9
	v_or_b32_sdwa v22, v22, v23 dst_sel:DWORD dst_unused:UNUSED_PAD src0_sel:WORD_0 src1_sel:DWORD
	;; [unrolled: 16-line block ×5, first 2 shown]
	v_cndmask_b32_e32 v26, 13, v14, vcc
	v_lshrrev_b32_e32 v27, 8, v14
	v_cmp_ne_u32_e32 vcc, 21, v9
	v_cndmask_b32_e32 v27, 13, v27, vcc
	v_lshlrev_b16_e32 v27, 8, v27
	v_or_b32_sdwa v26, v26, v27 dst_sel:DWORD dst_unused:UNUSED_PAD src0_sel:BYTE_0 src1_sel:DWORD
	v_lshrrev_b32_e32 v27, 24, v14
	v_cmp_ne_u32_e32 vcc, 23, v9
	v_cndmask_b32_e32 v27, 13, v27, vcc
	v_lshrrev_b32_e32 v36, 16, v14
	v_cmp_ne_u32_e32 vcc, 22, v9
	v_and_b32_e32 v20, 0x2000, v8
	v_lshlrev_b16_e32 v27, 8, v27
	v_cndmask_b32_e32 v36, 13, v36, vcc
	v_or_b32_sdwa v27, v36, v27 dst_sel:WORD_1 dst_unused:UNUSED_PAD src0_sel:BYTE_0 src1_sel:DWORD
	v_cmp_eq_u32_e32 vcc, 0, v20
	v_bfe_u32 v20, v8, 13, 1
	v_or_b32_sdwa v26, v26, v27 dst_sel:DWORD dst_unused:UNUSED_PAD src0_sel:WORD_0 src1_sel:DWORD
	v_add_u32_e32 v9, v9, v20
	v_cndmask_b32_e32 v14, v26, v14, vcc
	v_cndmask_b32_e32 v15, v25, v15, vcc
	;; [unrolled: 1-line block ×6, first 2 shown]
	v_cmp_ne_u32_e32 vcc, 0, v9
	v_cndmask_b32_e32 v21, 14, v16, vcc
	v_lshrrev_b32_e32 v22, 8, v16
	v_cmp_ne_u32_e32 vcc, 1, v9
	v_cndmask_b32_e32 v22, 14, v22, vcc
	v_lshlrev_b16_e32 v22, 8, v22
	v_or_b32_sdwa v21, v21, v22 dst_sel:DWORD dst_unused:UNUSED_PAD src0_sel:BYTE_0 src1_sel:DWORD
	v_lshrrev_b32_e32 v22, 24, v16
	v_cmp_ne_u32_e32 vcc, 3, v9
	v_cndmask_b32_e32 v22, 14, v22, vcc
	v_lshrrev_b32_e32 v23, 16, v16
	v_cmp_ne_u32_e32 vcc, 2, v9
	v_lshlrev_b16_e32 v22, 8, v22
	v_cndmask_b32_e32 v23, 14, v23, vcc
	v_or_b32_sdwa v22, v23, v22 dst_sel:WORD_1 dst_unused:UNUSED_PAD src0_sel:BYTE_0 src1_sel:DWORD
	v_cmp_ne_u32_e32 vcc, 4, v9
	v_or_b32_sdwa v21, v21, v22 dst_sel:DWORD dst_unused:UNUSED_PAD src0_sel:WORD_0 src1_sel:DWORD
	v_cndmask_b32_e32 v22, 14, v18, vcc
	v_lshrrev_b32_e32 v23, 8, v18
	v_cmp_ne_u32_e32 vcc, 5, v9
	v_cndmask_b32_e32 v23, 14, v23, vcc
	v_lshlrev_b16_e32 v23, 8, v23
	v_or_b32_sdwa v22, v22, v23 dst_sel:DWORD dst_unused:UNUSED_PAD src0_sel:BYTE_0 src1_sel:DWORD
	v_lshrrev_b32_e32 v23, 24, v18
	v_cmp_ne_u32_e32 vcc, 7, v9
	v_cndmask_b32_e32 v23, 14, v23, vcc
	v_lshrrev_b32_e32 v24, 16, v18
	v_cmp_ne_u32_e32 vcc, 6, v9
	v_lshlrev_b16_e32 v23, 8, v23
	v_cndmask_b32_e32 v24, 14, v24, vcc
	v_or_b32_sdwa v23, v24, v23 dst_sel:WORD_1 dst_unused:UNUSED_PAD src0_sel:BYTE_0 src1_sel:DWORD
	v_cmp_ne_u32_e32 vcc, 8, v9
	v_or_b32_sdwa v22, v22, v23 dst_sel:DWORD dst_unused:UNUSED_PAD src0_sel:WORD_0 src1_sel:DWORD
	;; [unrolled: 16-line block ×5, first 2 shown]
	v_cndmask_b32_e32 v26, 14, v14, vcc
	v_lshrrev_b32_e32 v27, 8, v14
	v_cmp_ne_u32_e32 vcc, 21, v9
	v_cndmask_b32_e32 v27, 14, v27, vcc
	v_lshlrev_b16_e32 v27, 8, v27
	v_or_b32_sdwa v26, v26, v27 dst_sel:DWORD dst_unused:UNUSED_PAD src0_sel:BYTE_0 src1_sel:DWORD
	v_lshrrev_b32_e32 v27, 24, v14
	v_cmp_ne_u32_e32 vcc, 23, v9
	v_cndmask_b32_e32 v27, 14, v27, vcc
	v_lshrrev_b32_e32 v36, 16, v14
	v_cmp_ne_u32_e32 vcc, 22, v9
	v_and_b32_e32 v20, 0x4000, v8
	v_lshlrev_b16_e32 v27, 8, v27
	v_cndmask_b32_e32 v36, 14, v36, vcc
	v_or_b32_sdwa v27, v36, v27 dst_sel:WORD_1 dst_unused:UNUSED_PAD src0_sel:BYTE_0 src1_sel:DWORD
	v_cmp_eq_u32_e32 vcc, 0, v20
	v_bfe_u32 v20, v8, 14, 1
	v_or_b32_sdwa v26, v26, v27 dst_sel:DWORD dst_unused:UNUSED_PAD src0_sel:WORD_0 src1_sel:DWORD
	v_add_u32_e32 v9, v9, v20
	v_cndmask_b32_e32 v14, v26, v14, vcc
	v_cndmask_b32_e32 v15, v25, v15, vcc
	;; [unrolled: 1-line block ×6, first 2 shown]
	v_cmp_ne_u32_e32 vcc, 0, v9
	v_cndmask_b32_e32 v21, 15, v16, vcc
	v_lshrrev_b32_e32 v22, 8, v16
	v_cmp_ne_u32_e32 vcc, 1, v9
	v_cndmask_b32_e32 v22, 15, v22, vcc
	v_lshlrev_b16_e32 v22, 8, v22
	v_or_b32_sdwa v21, v21, v22 dst_sel:DWORD dst_unused:UNUSED_PAD src0_sel:BYTE_0 src1_sel:DWORD
	v_lshrrev_b32_e32 v22, 24, v16
	v_cmp_ne_u32_e32 vcc, 3, v9
	v_cndmask_b32_e32 v22, 15, v22, vcc
	v_lshrrev_b32_e32 v23, 16, v16
	v_cmp_ne_u32_e32 vcc, 2, v9
	v_lshlrev_b16_e32 v22, 8, v22
	v_cndmask_b32_e32 v23, 15, v23, vcc
	v_or_b32_sdwa v22, v23, v22 dst_sel:WORD_1 dst_unused:UNUSED_PAD src0_sel:BYTE_0 src1_sel:DWORD
	v_cmp_ne_u32_e32 vcc, 4, v9
	v_or_b32_sdwa v21, v21, v22 dst_sel:DWORD dst_unused:UNUSED_PAD src0_sel:WORD_0 src1_sel:DWORD
	v_cndmask_b32_e32 v22, 15, v18, vcc
	v_lshrrev_b32_e32 v23, 8, v18
	v_cmp_ne_u32_e32 vcc, 5, v9
	v_cndmask_b32_e32 v23, 15, v23, vcc
	v_lshlrev_b16_e32 v23, 8, v23
	v_or_b32_sdwa v22, v22, v23 dst_sel:DWORD dst_unused:UNUSED_PAD src0_sel:BYTE_0 src1_sel:DWORD
	v_lshrrev_b32_e32 v23, 24, v18
	v_cmp_ne_u32_e32 vcc, 7, v9
	v_cndmask_b32_e32 v23, 15, v23, vcc
	v_lshrrev_b32_e32 v24, 16, v18
	v_cmp_ne_u32_e32 vcc, 6, v9
	v_lshlrev_b16_e32 v23, 8, v23
	v_cndmask_b32_e32 v24, 15, v24, vcc
	v_or_b32_sdwa v23, v24, v23 dst_sel:WORD_1 dst_unused:UNUSED_PAD src0_sel:BYTE_0 src1_sel:DWORD
	v_cmp_ne_u32_e32 vcc, 8, v9
	v_or_b32_sdwa v22, v22, v23 dst_sel:DWORD dst_unused:UNUSED_PAD src0_sel:WORD_0 src1_sel:DWORD
	;; [unrolled: 16-line block ×5, first 2 shown]
	v_cndmask_b32_e32 v26, 15, v14, vcc
	v_lshrrev_b32_e32 v27, 8, v14
	v_cmp_ne_u32_e32 vcc, 21, v9
	v_cndmask_b32_e32 v27, 15, v27, vcc
	v_lshlrev_b16_e32 v27, 8, v27
	v_or_b32_sdwa v26, v26, v27 dst_sel:DWORD dst_unused:UNUSED_PAD src0_sel:BYTE_0 src1_sel:DWORD
	v_lshrrev_b32_e32 v27, 24, v14
	v_cmp_ne_u32_e32 vcc, 23, v9
	v_cndmask_b32_e32 v27, 15, v27, vcc
	v_lshrrev_b32_e32 v36, 16, v14
	v_cmp_ne_u32_e32 vcc, 22, v9
	v_and_b32_e32 v20, 0x8000, v8
	v_lshlrev_b16_e32 v27, 8, v27
	v_cndmask_b32_e32 v36, 15, v36, vcc
	v_or_b32_sdwa v27, v36, v27 dst_sel:WORD_1 dst_unused:UNUSED_PAD src0_sel:BYTE_0 src1_sel:DWORD
	v_cmp_eq_u32_e32 vcc, 0, v20
	v_bfe_u32 v20, v8, 15, 1
	v_or_b32_sdwa v26, v26, v27 dst_sel:DWORD dst_unused:UNUSED_PAD src0_sel:WORD_0 src1_sel:DWORD
	v_add_u32_e32 v9, v9, v20
	v_cndmask_b32_e32 v14, v26, v14, vcc
	v_cndmask_b32_e32 v15, v25, v15, vcc
	;; [unrolled: 1-line block ×6, first 2 shown]
	v_cmp_ne_u32_e32 vcc, 0, v9
	v_cndmask_b32_e32 v21, 16, v16, vcc
	v_lshrrev_b32_e32 v22, 8, v16
	v_cmp_ne_u32_e32 vcc, 1, v9
	v_cndmask_b32_e32 v22, 16, v22, vcc
	v_lshlrev_b16_e32 v22, 8, v22
	v_or_b32_sdwa v21, v21, v22 dst_sel:DWORD dst_unused:UNUSED_PAD src0_sel:BYTE_0 src1_sel:DWORD
	v_lshrrev_b32_e32 v22, 24, v16
	v_cmp_ne_u32_e32 vcc, 3, v9
	v_cndmask_b32_e32 v22, 16, v22, vcc
	v_lshrrev_b32_e32 v23, 16, v16
	v_cmp_ne_u32_e32 vcc, 2, v9
	v_lshlrev_b16_e32 v22, 8, v22
	v_cndmask_b32_e32 v23, 16, v23, vcc
	v_or_b32_sdwa v22, v23, v22 dst_sel:WORD_1 dst_unused:UNUSED_PAD src0_sel:BYTE_0 src1_sel:DWORD
	v_cmp_ne_u32_e32 vcc, 4, v9
	v_or_b32_sdwa v21, v21, v22 dst_sel:DWORD dst_unused:UNUSED_PAD src0_sel:WORD_0 src1_sel:DWORD
	v_cndmask_b32_e32 v22, 16, v18, vcc
	v_lshrrev_b32_e32 v23, 8, v18
	v_cmp_ne_u32_e32 vcc, 5, v9
	v_cndmask_b32_e32 v23, 16, v23, vcc
	v_lshlrev_b16_e32 v23, 8, v23
	v_or_b32_sdwa v22, v22, v23 dst_sel:DWORD dst_unused:UNUSED_PAD src0_sel:BYTE_0 src1_sel:DWORD
	v_lshrrev_b32_e32 v23, 24, v18
	v_cmp_ne_u32_e32 vcc, 7, v9
	v_cndmask_b32_e32 v23, 16, v23, vcc
	v_lshrrev_b32_e32 v24, 16, v18
	v_cmp_ne_u32_e32 vcc, 6, v9
	v_lshlrev_b16_e32 v23, 8, v23
	v_cndmask_b32_e32 v24, 16, v24, vcc
	v_or_b32_sdwa v23, v24, v23 dst_sel:WORD_1 dst_unused:UNUSED_PAD src0_sel:BYTE_0 src1_sel:DWORD
	v_cmp_ne_u32_e32 vcc, 8, v9
	v_or_b32_sdwa v22, v22, v23 dst_sel:DWORD dst_unused:UNUSED_PAD src0_sel:WORD_0 src1_sel:DWORD
	;; [unrolled: 16-line block ×5, first 2 shown]
	v_cndmask_b32_e32 v26, 16, v14, vcc
	v_lshrrev_b32_e32 v27, 8, v14
	v_cmp_ne_u32_e32 vcc, 21, v9
	v_cndmask_b32_e32 v27, 16, v27, vcc
	v_lshlrev_b16_e32 v27, 8, v27
	v_or_b32_sdwa v26, v26, v27 dst_sel:DWORD dst_unused:UNUSED_PAD src0_sel:BYTE_0 src1_sel:DWORD
	v_lshrrev_b32_e32 v27, 24, v14
	v_cmp_ne_u32_e32 vcc, 23, v9
	v_cndmask_b32_e32 v27, 16, v27, vcc
	v_lshrrev_b32_e32 v36, 16, v14
	v_cmp_ne_u32_e32 vcc, 22, v9
	v_and_b32_e32 v20, 0x10000, v8
	v_lshlrev_b16_e32 v27, 8, v27
	v_cndmask_b32_e32 v36, 16, v36, vcc
	v_or_b32_sdwa v27, v36, v27 dst_sel:WORD_1 dst_unused:UNUSED_PAD src0_sel:BYTE_0 src1_sel:DWORD
	v_cmp_eq_u32_e32 vcc, 0, v20
	v_bfe_u32 v20, v8, 16, 1
	v_or_b32_sdwa v26, v26, v27 dst_sel:DWORD dst_unused:UNUSED_PAD src0_sel:WORD_0 src1_sel:DWORD
	v_add_u32_e32 v9, v9, v20
	v_cndmask_b32_e32 v14, v26, v14, vcc
	v_cndmask_b32_e32 v15, v25, v15, vcc
	;; [unrolled: 1-line block ×6, first 2 shown]
	v_cmp_ne_u32_e32 vcc, 0, v9
	v_cndmask_b32_e32 v21, 17, v16, vcc
	v_lshrrev_b32_e32 v22, 8, v16
	v_cmp_ne_u32_e32 vcc, 1, v9
	v_cndmask_b32_e32 v22, 17, v22, vcc
	v_lshlrev_b16_e32 v22, 8, v22
	v_or_b32_sdwa v21, v21, v22 dst_sel:DWORD dst_unused:UNUSED_PAD src0_sel:BYTE_0 src1_sel:DWORD
	v_lshrrev_b32_e32 v22, 24, v16
	v_cmp_ne_u32_e32 vcc, 3, v9
	v_cndmask_b32_e32 v22, 17, v22, vcc
	v_lshrrev_b32_e32 v23, 16, v16
	v_cmp_ne_u32_e32 vcc, 2, v9
	v_lshlrev_b16_e32 v22, 8, v22
	v_cndmask_b32_e32 v23, 17, v23, vcc
	v_or_b32_sdwa v22, v23, v22 dst_sel:WORD_1 dst_unused:UNUSED_PAD src0_sel:BYTE_0 src1_sel:DWORD
	v_cmp_ne_u32_e32 vcc, 4, v9
	v_or_b32_sdwa v21, v21, v22 dst_sel:DWORD dst_unused:UNUSED_PAD src0_sel:WORD_0 src1_sel:DWORD
	v_cndmask_b32_e32 v22, 17, v18, vcc
	v_lshrrev_b32_e32 v23, 8, v18
	v_cmp_ne_u32_e32 vcc, 5, v9
	v_cndmask_b32_e32 v23, 17, v23, vcc
	v_lshlrev_b16_e32 v23, 8, v23
	v_or_b32_sdwa v22, v22, v23 dst_sel:DWORD dst_unused:UNUSED_PAD src0_sel:BYTE_0 src1_sel:DWORD
	v_lshrrev_b32_e32 v23, 24, v18
	v_cmp_ne_u32_e32 vcc, 7, v9
	v_cndmask_b32_e32 v23, 17, v23, vcc
	v_lshrrev_b32_e32 v24, 16, v18
	v_cmp_ne_u32_e32 vcc, 6, v9
	v_lshlrev_b16_e32 v23, 8, v23
	v_cndmask_b32_e32 v24, 17, v24, vcc
	v_or_b32_sdwa v23, v24, v23 dst_sel:WORD_1 dst_unused:UNUSED_PAD src0_sel:BYTE_0 src1_sel:DWORD
	v_cmp_ne_u32_e32 vcc, 8, v9
	v_or_b32_sdwa v22, v22, v23 dst_sel:DWORD dst_unused:UNUSED_PAD src0_sel:WORD_0 src1_sel:DWORD
	;; [unrolled: 16-line block ×5, first 2 shown]
	v_cndmask_b32_e32 v26, 17, v14, vcc
	v_lshrrev_b32_e32 v27, 8, v14
	v_cmp_ne_u32_e32 vcc, 21, v9
	v_cndmask_b32_e32 v27, 17, v27, vcc
	v_lshlrev_b16_e32 v27, 8, v27
	v_or_b32_sdwa v26, v26, v27 dst_sel:DWORD dst_unused:UNUSED_PAD src0_sel:BYTE_0 src1_sel:DWORD
	v_lshrrev_b32_e32 v27, 24, v14
	v_cmp_ne_u32_e32 vcc, 23, v9
	v_cndmask_b32_e32 v27, 17, v27, vcc
	v_lshrrev_b32_e32 v36, 16, v14
	v_cmp_ne_u32_e32 vcc, 22, v9
	v_and_b32_e32 v20, 0x20000, v8
	v_lshlrev_b16_e32 v27, 8, v27
	v_cndmask_b32_e32 v36, 17, v36, vcc
	v_or_b32_sdwa v27, v36, v27 dst_sel:WORD_1 dst_unused:UNUSED_PAD src0_sel:BYTE_0 src1_sel:DWORD
	v_cmp_eq_u32_e32 vcc, 0, v20
	v_bfe_u32 v20, v8, 17, 1
	v_or_b32_sdwa v26, v26, v27 dst_sel:DWORD dst_unused:UNUSED_PAD src0_sel:WORD_0 src1_sel:DWORD
	v_add_u32_e32 v9, v9, v20
	v_cndmask_b32_e32 v14, v26, v14, vcc
	v_cndmask_b32_e32 v15, v25, v15, vcc
	;; [unrolled: 1-line block ×6, first 2 shown]
	v_cmp_ne_u32_e32 vcc, 0, v9
	v_cndmask_b32_e32 v21, 18, v16, vcc
	v_lshrrev_b32_e32 v22, 8, v16
	v_cmp_ne_u32_e32 vcc, 1, v9
	v_cndmask_b32_e32 v22, 18, v22, vcc
	v_lshlrev_b16_e32 v22, 8, v22
	v_or_b32_sdwa v21, v21, v22 dst_sel:DWORD dst_unused:UNUSED_PAD src0_sel:BYTE_0 src1_sel:DWORD
	v_lshrrev_b32_e32 v22, 24, v16
	v_cmp_ne_u32_e32 vcc, 3, v9
	v_cndmask_b32_e32 v22, 18, v22, vcc
	v_lshrrev_b32_e32 v23, 16, v16
	v_cmp_ne_u32_e32 vcc, 2, v9
	v_lshlrev_b16_e32 v22, 8, v22
	v_cndmask_b32_e32 v23, 18, v23, vcc
	v_or_b32_sdwa v22, v23, v22 dst_sel:WORD_1 dst_unused:UNUSED_PAD src0_sel:BYTE_0 src1_sel:DWORD
	v_cmp_ne_u32_e32 vcc, 4, v9
	v_or_b32_sdwa v21, v21, v22 dst_sel:DWORD dst_unused:UNUSED_PAD src0_sel:WORD_0 src1_sel:DWORD
	v_cndmask_b32_e32 v22, 18, v18, vcc
	v_lshrrev_b32_e32 v23, 8, v18
	v_cmp_ne_u32_e32 vcc, 5, v9
	v_cndmask_b32_e32 v23, 18, v23, vcc
	v_lshlrev_b16_e32 v23, 8, v23
	v_or_b32_sdwa v22, v22, v23 dst_sel:DWORD dst_unused:UNUSED_PAD src0_sel:BYTE_0 src1_sel:DWORD
	v_lshrrev_b32_e32 v23, 24, v18
	v_cmp_ne_u32_e32 vcc, 7, v9
	v_cndmask_b32_e32 v23, 18, v23, vcc
	v_lshrrev_b32_e32 v24, 16, v18
	v_cmp_ne_u32_e32 vcc, 6, v9
	v_lshlrev_b16_e32 v23, 8, v23
	v_cndmask_b32_e32 v24, 18, v24, vcc
	v_or_b32_sdwa v23, v24, v23 dst_sel:WORD_1 dst_unused:UNUSED_PAD src0_sel:BYTE_0 src1_sel:DWORD
	v_cmp_ne_u32_e32 vcc, 8, v9
	v_or_b32_sdwa v22, v22, v23 dst_sel:DWORD dst_unused:UNUSED_PAD src0_sel:WORD_0 src1_sel:DWORD
	;; [unrolled: 16-line block ×5, first 2 shown]
	v_cndmask_b32_e32 v26, 18, v14, vcc
	v_lshrrev_b32_e32 v27, 8, v14
	v_cmp_ne_u32_e32 vcc, 21, v9
	v_cndmask_b32_e32 v27, 18, v27, vcc
	v_lshlrev_b16_e32 v27, 8, v27
	v_or_b32_sdwa v26, v26, v27 dst_sel:DWORD dst_unused:UNUSED_PAD src0_sel:BYTE_0 src1_sel:DWORD
	v_lshrrev_b32_e32 v27, 24, v14
	v_cmp_ne_u32_e32 vcc, 23, v9
	v_cndmask_b32_e32 v27, 18, v27, vcc
	v_lshrrev_b32_e32 v36, 16, v14
	v_cmp_ne_u32_e32 vcc, 22, v9
	v_and_b32_e32 v20, 0x40000, v8
	v_lshlrev_b16_e32 v27, 8, v27
	v_cndmask_b32_e32 v36, 18, v36, vcc
	v_or_b32_sdwa v27, v36, v27 dst_sel:WORD_1 dst_unused:UNUSED_PAD src0_sel:BYTE_0 src1_sel:DWORD
	v_cmp_eq_u32_e32 vcc, 0, v20
	v_bfe_u32 v20, v8, 18, 1
	v_or_b32_sdwa v26, v26, v27 dst_sel:DWORD dst_unused:UNUSED_PAD src0_sel:WORD_0 src1_sel:DWORD
	v_add_u32_e32 v9, v9, v20
	v_cndmask_b32_e32 v14, v26, v14, vcc
	v_cndmask_b32_e32 v15, v25, v15, vcc
	v_cndmask_b32_e32 v17, v24, v17, vcc
	v_cndmask_b32_e32 v19, v23, v19, vcc
	v_cndmask_b32_e32 v18, v22, v18, vcc
	v_cndmask_b32_e32 v16, v21, v16, vcc
	v_cmp_ne_u32_e32 vcc, 0, v9
	v_cndmask_b32_e32 v21, 19, v16, vcc
	v_lshrrev_b32_e32 v22, 8, v16
	v_cmp_ne_u32_e32 vcc, 1, v9
	v_cndmask_b32_e32 v22, 19, v22, vcc
	v_lshlrev_b16_e32 v22, 8, v22
	v_or_b32_sdwa v21, v21, v22 dst_sel:DWORD dst_unused:UNUSED_PAD src0_sel:BYTE_0 src1_sel:DWORD
	v_lshrrev_b32_e32 v22, 24, v16
	v_cmp_ne_u32_e32 vcc, 3, v9
	v_cndmask_b32_e32 v22, 19, v22, vcc
	v_lshrrev_b32_e32 v23, 16, v16
	v_cmp_ne_u32_e32 vcc, 2, v9
	v_lshlrev_b16_e32 v22, 8, v22
	v_cndmask_b32_e32 v23, 19, v23, vcc
	v_or_b32_sdwa v22, v23, v22 dst_sel:WORD_1 dst_unused:UNUSED_PAD src0_sel:BYTE_0 src1_sel:DWORD
	v_cmp_ne_u32_e32 vcc, 4, v9
	v_or_b32_sdwa v21, v21, v22 dst_sel:DWORD dst_unused:UNUSED_PAD src0_sel:WORD_0 src1_sel:DWORD
	v_cndmask_b32_e32 v22, 19, v18, vcc
	v_lshrrev_b32_e32 v23, 8, v18
	v_cmp_ne_u32_e32 vcc, 5, v9
	v_cndmask_b32_e32 v23, 19, v23, vcc
	v_lshlrev_b16_e32 v23, 8, v23
	v_or_b32_sdwa v22, v22, v23 dst_sel:DWORD dst_unused:UNUSED_PAD src0_sel:BYTE_0 src1_sel:DWORD
	v_lshrrev_b32_e32 v23, 24, v18
	v_cmp_ne_u32_e32 vcc, 7, v9
	v_cndmask_b32_e32 v23, 19, v23, vcc
	v_lshrrev_b32_e32 v24, 16, v18
	v_cmp_ne_u32_e32 vcc, 6, v9
	v_lshlrev_b16_e32 v23, 8, v23
	v_cndmask_b32_e32 v24, 19, v24, vcc
	v_or_b32_sdwa v23, v24, v23 dst_sel:WORD_1 dst_unused:UNUSED_PAD src0_sel:BYTE_0 src1_sel:DWORD
	v_cmp_ne_u32_e32 vcc, 8, v9
	v_or_b32_sdwa v22, v22, v23 dst_sel:DWORD dst_unused:UNUSED_PAD src0_sel:WORD_0 src1_sel:DWORD
	;; [unrolled: 16-line block ×5, first 2 shown]
	v_cndmask_b32_e32 v26, 19, v14, vcc
	v_lshrrev_b32_e32 v27, 8, v14
	v_cmp_ne_u32_e32 vcc, 21, v9
	v_cndmask_b32_e32 v27, 19, v27, vcc
	v_lshlrev_b16_e32 v27, 8, v27
	v_or_b32_sdwa v26, v26, v27 dst_sel:DWORD dst_unused:UNUSED_PAD src0_sel:BYTE_0 src1_sel:DWORD
	v_lshrrev_b32_e32 v27, 24, v14
	v_cmp_ne_u32_e32 vcc, 23, v9
	v_cndmask_b32_e32 v27, 19, v27, vcc
	v_lshrrev_b32_e32 v36, 16, v14
	v_cmp_ne_u32_e32 vcc, 22, v9
	v_and_b32_e32 v20, 0x80000, v8
	v_lshlrev_b16_e32 v27, 8, v27
	v_cndmask_b32_e32 v36, 19, v36, vcc
	v_or_b32_sdwa v27, v36, v27 dst_sel:WORD_1 dst_unused:UNUSED_PAD src0_sel:BYTE_0 src1_sel:DWORD
	v_cmp_eq_u32_e32 vcc, 0, v20
	v_bfe_u32 v20, v8, 19, 1
	v_or_b32_sdwa v26, v26, v27 dst_sel:DWORD dst_unused:UNUSED_PAD src0_sel:WORD_0 src1_sel:DWORD
	v_add_u32_e32 v9, v9, v20
	v_cndmask_b32_e32 v14, v26, v14, vcc
	v_cndmask_b32_e32 v15, v25, v15, vcc
	;; [unrolled: 1-line block ×6, first 2 shown]
	v_cmp_ne_u32_e32 vcc, 0, v9
	v_cndmask_b32_e32 v21, 20, v16, vcc
	v_lshrrev_b32_e32 v22, 8, v16
	v_cmp_ne_u32_e32 vcc, 1, v9
	v_cndmask_b32_e32 v22, 20, v22, vcc
	v_lshlrev_b16_e32 v22, 8, v22
	v_or_b32_sdwa v21, v21, v22 dst_sel:DWORD dst_unused:UNUSED_PAD src0_sel:BYTE_0 src1_sel:DWORD
	v_lshrrev_b32_e32 v22, 24, v16
	v_cmp_ne_u32_e32 vcc, 3, v9
	v_cndmask_b32_e32 v22, 20, v22, vcc
	v_lshrrev_b32_e32 v23, 16, v16
	v_cmp_ne_u32_e32 vcc, 2, v9
	v_lshlrev_b16_e32 v22, 8, v22
	v_cndmask_b32_e32 v23, 20, v23, vcc
	v_or_b32_sdwa v22, v23, v22 dst_sel:WORD_1 dst_unused:UNUSED_PAD src0_sel:BYTE_0 src1_sel:DWORD
	v_cmp_ne_u32_e32 vcc, 4, v9
	v_or_b32_sdwa v21, v21, v22 dst_sel:DWORD dst_unused:UNUSED_PAD src0_sel:WORD_0 src1_sel:DWORD
	v_cndmask_b32_e32 v22, 20, v18, vcc
	v_lshrrev_b32_e32 v23, 8, v18
	v_cmp_ne_u32_e32 vcc, 5, v9
	v_cndmask_b32_e32 v23, 20, v23, vcc
	v_lshlrev_b16_e32 v23, 8, v23
	v_or_b32_sdwa v22, v22, v23 dst_sel:DWORD dst_unused:UNUSED_PAD src0_sel:BYTE_0 src1_sel:DWORD
	v_lshrrev_b32_e32 v23, 24, v18
	v_cmp_ne_u32_e32 vcc, 7, v9
	v_cndmask_b32_e32 v23, 20, v23, vcc
	v_lshrrev_b32_e32 v24, 16, v18
	v_cmp_ne_u32_e32 vcc, 6, v9
	v_lshlrev_b16_e32 v23, 8, v23
	v_cndmask_b32_e32 v24, 20, v24, vcc
	v_or_b32_sdwa v23, v24, v23 dst_sel:WORD_1 dst_unused:UNUSED_PAD src0_sel:BYTE_0 src1_sel:DWORD
	v_cmp_ne_u32_e32 vcc, 8, v9
	v_or_b32_sdwa v22, v22, v23 dst_sel:DWORD dst_unused:UNUSED_PAD src0_sel:WORD_0 src1_sel:DWORD
	;; [unrolled: 16-line block ×5, first 2 shown]
	v_cndmask_b32_e32 v26, 20, v14, vcc
	v_lshrrev_b32_e32 v27, 8, v14
	v_cmp_ne_u32_e32 vcc, 21, v9
	v_cndmask_b32_e32 v27, 20, v27, vcc
	v_lshlrev_b16_e32 v27, 8, v27
	v_or_b32_sdwa v26, v26, v27 dst_sel:DWORD dst_unused:UNUSED_PAD src0_sel:BYTE_0 src1_sel:DWORD
	v_lshrrev_b32_e32 v27, 24, v14
	v_cmp_ne_u32_e32 vcc, 23, v9
	v_cndmask_b32_e32 v27, 20, v27, vcc
	v_lshrrev_b32_e32 v36, 16, v14
	v_cmp_ne_u32_e32 vcc, 22, v9
	v_and_b32_e32 v20, 0x100000, v8
	v_lshlrev_b16_e32 v27, 8, v27
	v_cndmask_b32_e32 v36, 20, v36, vcc
	v_or_b32_sdwa v27, v36, v27 dst_sel:WORD_1 dst_unused:UNUSED_PAD src0_sel:BYTE_0 src1_sel:DWORD
	v_cmp_eq_u32_e32 vcc, 0, v20
	v_bfe_u32 v20, v8, 20, 1
	v_or_b32_sdwa v26, v26, v27 dst_sel:DWORD dst_unused:UNUSED_PAD src0_sel:WORD_0 src1_sel:DWORD
	v_add_u32_e32 v9, v9, v20
	v_cndmask_b32_e32 v14, v26, v14, vcc
	v_cndmask_b32_e32 v15, v25, v15, vcc
	;; [unrolled: 1-line block ×6, first 2 shown]
	v_cmp_ne_u32_e32 vcc, 0, v9
	v_cndmask_b32_e32 v21, 21, v16, vcc
	v_lshrrev_b32_e32 v22, 8, v16
	v_cmp_ne_u32_e32 vcc, 1, v9
	v_cndmask_b32_e32 v22, 21, v22, vcc
	v_lshlrev_b16_e32 v22, 8, v22
	v_or_b32_sdwa v21, v21, v22 dst_sel:DWORD dst_unused:UNUSED_PAD src0_sel:BYTE_0 src1_sel:DWORD
	v_lshrrev_b32_e32 v22, 24, v16
	v_cmp_ne_u32_e32 vcc, 3, v9
	v_cndmask_b32_e32 v22, 21, v22, vcc
	v_lshrrev_b32_e32 v23, 16, v16
	v_cmp_ne_u32_e32 vcc, 2, v9
	v_lshlrev_b16_e32 v22, 8, v22
	v_cndmask_b32_e32 v23, 21, v23, vcc
	v_or_b32_sdwa v22, v23, v22 dst_sel:WORD_1 dst_unused:UNUSED_PAD src0_sel:BYTE_0 src1_sel:DWORD
	v_cmp_ne_u32_e32 vcc, 4, v9
	v_or_b32_sdwa v21, v21, v22 dst_sel:DWORD dst_unused:UNUSED_PAD src0_sel:WORD_0 src1_sel:DWORD
	v_cndmask_b32_e32 v22, 21, v18, vcc
	v_lshrrev_b32_e32 v23, 8, v18
	v_cmp_ne_u32_e32 vcc, 5, v9
	v_cndmask_b32_e32 v23, 21, v23, vcc
	v_lshlrev_b16_e32 v23, 8, v23
	v_or_b32_sdwa v22, v22, v23 dst_sel:DWORD dst_unused:UNUSED_PAD src0_sel:BYTE_0 src1_sel:DWORD
	v_lshrrev_b32_e32 v23, 24, v18
	v_cmp_ne_u32_e32 vcc, 7, v9
	v_cndmask_b32_e32 v23, 21, v23, vcc
	v_lshrrev_b32_e32 v24, 16, v18
	v_cmp_ne_u32_e32 vcc, 6, v9
	v_lshlrev_b16_e32 v23, 8, v23
	v_cndmask_b32_e32 v24, 21, v24, vcc
	v_or_b32_sdwa v23, v24, v23 dst_sel:WORD_1 dst_unused:UNUSED_PAD src0_sel:BYTE_0 src1_sel:DWORD
	v_cmp_ne_u32_e32 vcc, 8, v9
	v_or_b32_sdwa v22, v22, v23 dst_sel:DWORD dst_unused:UNUSED_PAD src0_sel:WORD_0 src1_sel:DWORD
	;; [unrolled: 16-line block ×5, first 2 shown]
	v_cndmask_b32_e32 v26, 21, v14, vcc
	v_lshrrev_b32_e32 v27, 8, v14
	v_cmp_ne_u32_e32 vcc, 21, v9
	v_cndmask_b32_e32 v27, 21, v27, vcc
	v_lshlrev_b16_e32 v27, 8, v27
	v_or_b32_sdwa v26, v26, v27 dst_sel:DWORD dst_unused:UNUSED_PAD src0_sel:BYTE_0 src1_sel:DWORD
	v_lshrrev_b32_e32 v27, 24, v14
	v_cmp_ne_u32_e32 vcc, 23, v9
	v_cndmask_b32_e32 v27, 21, v27, vcc
	v_lshrrev_b32_e32 v36, 16, v14
	v_cmp_ne_u32_e32 vcc, 22, v9
	v_and_b32_e32 v20, 0x200000, v8
	v_lshlrev_b16_e32 v27, 8, v27
	v_cndmask_b32_e32 v36, 21, v36, vcc
	v_or_b32_sdwa v27, v36, v27 dst_sel:WORD_1 dst_unused:UNUSED_PAD src0_sel:BYTE_0 src1_sel:DWORD
	v_cmp_eq_u32_e32 vcc, 0, v20
	v_bfe_u32 v20, v8, 21, 1
	v_or_b32_sdwa v26, v26, v27 dst_sel:DWORD dst_unused:UNUSED_PAD src0_sel:WORD_0 src1_sel:DWORD
	v_add_u32_e32 v9, v9, v20
	v_cndmask_b32_e32 v14, v26, v14, vcc
	v_cndmask_b32_e32 v15, v25, v15, vcc
	;; [unrolled: 1-line block ×6, first 2 shown]
	v_cmp_ne_u32_e32 vcc, 0, v9
	v_cndmask_b32_e32 v21, 22, v16, vcc
	v_lshrrev_b32_e32 v22, 8, v16
	v_cmp_ne_u32_e32 vcc, 1, v9
	v_cndmask_b32_e32 v22, 22, v22, vcc
	v_lshlrev_b16_e32 v22, 8, v22
	v_or_b32_sdwa v21, v21, v22 dst_sel:DWORD dst_unused:UNUSED_PAD src0_sel:BYTE_0 src1_sel:DWORD
	v_lshrrev_b32_e32 v22, 24, v16
	v_cmp_ne_u32_e32 vcc, 3, v9
	v_cndmask_b32_e32 v22, 22, v22, vcc
	v_lshrrev_b32_e32 v23, 16, v16
	v_cmp_ne_u32_e32 vcc, 2, v9
	v_lshlrev_b16_e32 v22, 8, v22
	v_cndmask_b32_e32 v23, 22, v23, vcc
	v_or_b32_sdwa v22, v23, v22 dst_sel:WORD_1 dst_unused:UNUSED_PAD src0_sel:BYTE_0 src1_sel:DWORD
	v_cmp_ne_u32_e32 vcc, 4, v9
	v_or_b32_sdwa v21, v21, v22 dst_sel:DWORD dst_unused:UNUSED_PAD src0_sel:WORD_0 src1_sel:DWORD
	v_cndmask_b32_e32 v22, 22, v18, vcc
	v_lshrrev_b32_e32 v23, 8, v18
	v_cmp_ne_u32_e32 vcc, 5, v9
	v_cndmask_b32_e32 v23, 22, v23, vcc
	v_lshlrev_b16_e32 v23, 8, v23
	v_or_b32_sdwa v22, v22, v23 dst_sel:DWORD dst_unused:UNUSED_PAD src0_sel:BYTE_0 src1_sel:DWORD
	v_lshrrev_b32_e32 v23, 24, v18
	v_cmp_ne_u32_e32 vcc, 7, v9
	v_cndmask_b32_e32 v23, 22, v23, vcc
	v_lshrrev_b32_e32 v24, 16, v18
	v_cmp_ne_u32_e32 vcc, 6, v9
	v_lshlrev_b16_e32 v23, 8, v23
	v_cndmask_b32_e32 v24, 22, v24, vcc
	v_or_b32_sdwa v23, v24, v23 dst_sel:WORD_1 dst_unused:UNUSED_PAD src0_sel:BYTE_0 src1_sel:DWORD
	v_cmp_ne_u32_e32 vcc, 8, v9
	v_or_b32_sdwa v22, v22, v23 dst_sel:DWORD dst_unused:UNUSED_PAD src0_sel:WORD_0 src1_sel:DWORD
	;; [unrolled: 16-line block ×5, first 2 shown]
	v_cndmask_b32_e32 v26, 22, v14, vcc
	v_lshrrev_b32_e32 v27, 8, v14
	v_cmp_ne_u32_e32 vcc, 21, v9
	v_cndmask_b32_e32 v27, 22, v27, vcc
	v_lshlrev_b16_e32 v27, 8, v27
	v_or_b32_sdwa v26, v26, v27 dst_sel:DWORD dst_unused:UNUSED_PAD src0_sel:BYTE_0 src1_sel:DWORD
	v_lshrrev_b32_e32 v27, 24, v14
	v_cmp_ne_u32_e32 vcc, 23, v9
	v_cndmask_b32_e32 v27, 22, v27, vcc
	v_lshrrev_b32_e32 v36, 16, v14
	v_cmp_ne_u32_e32 vcc, 22, v9
	v_and_b32_e32 v20, 0x400000, v8
	v_lshlrev_b16_e32 v27, 8, v27
	v_cndmask_b32_e32 v36, 22, v36, vcc
	v_or_b32_sdwa v27, v36, v27 dst_sel:WORD_1 dst_unused:UNUSED_PAD src0_sel:BYTE_0 src1_sel:DWORD
	v_cmp_eq_u32_e32 vcc, 0, v20
	v_bfe_u32 v20, v8, 22, 1
	v_or_b32_sdwa v26, v26, v27 dst_sel:DWORD dst_unused:UNUSED_PAD src0_sel:WORD_0 src1_sel:DWORD
	v_add_u32_e32 v9, v9, v20
	v_cndmask_b32_e32 v14, v26, v14, vcc
	v_cndmask_b32_e32 v15, v25, v15, vcc
	;; [unrolled: 1-line block ×6, first 2 shown]
	v_cmp_ne_u32_e32 vcc, 0, v9
	v_cndmask_b32_e32 v21, 23, v16, vcc
	v_lshrrev_b32_e32 v22, 8, v16
	v_cmp_ne_u32_e32 vcc, 1, v9
	v_cndmask_b32_e32 v22, 23, v22, vcc
	v_lshlrev_b16_e32 v22, 8, v22
	v_or_b32_sdwa v21, v21, v22 dst_sel:DWORD dst_unused:UNUSED_PAD src0_sel:BYTE_0 src1_sel:DWORD
	v_lshrrev_b32_e32 v22, 24, v16
	v_cmp_ne_u32_e32 vcc, 3, v9
	v_cndmask_b32_e32 v22, 23, v22, vcc
	v_lshrrev_b32_e32 v23, 16, v16
	v_cmp_ne_u32_e32 vcc, 2, v9
	v_lshlrev_b16_e32 v22, 8, v22
	v_cndmask_b32_e32 v23, 23, v23, vcc
	v_or_b32_sdwa v22, v23, v22 dst_sel:WORD_1 dst_unused:UNUSED_PAD src0_sel:BYTE_0 src1_sel:DWORD
	v_cmp_ne_u32_e32 vcc, 4, v9
	v_or_b32_sdwa v21, v21, v22 dst_sel:DWORD dst_unused:UNUSED_PAD src0_sel:WORD_0 src1_sel:DWORD
	v_cndmask_b32_e32 v22, 23, v18, vcc
	v_lshrrev_b32_e32 v23, 8, v18
	v_cmp_ne_u32_e32 vcc, 5, v9
	v_cndmask_b32_e32 v23, 23, v23, vcc
	v_lshlrev_b16_e32 v23, 8, v23
	v_or_b32_sdwa v22, v22, v23 dst_sel:DWORD dst_unused:UNUSED_PAD src0_sel:BYTE_0 src1_sel:DWORD
	v_lshrrev_b32_e32 v23, 24, v18
	v_cmp_ne_u32_e32 vcc, 7, v9
	v_cndmask_b32_e32 v23, 23, v23, vcc
	v_lshrrev_b32_e32 v24, 16, v18
	v_cmp_ne_u32_e32 vcc, 6, v9
	v_lshlrev_b16_e32 v23, 8, v23
	v_cndmask_b32_e32 v24, 23, v24, vcc
	v_or_b32_sdwa v23, v24, v23 dst_sel:WORD_1 dst_unused:UNUSED_PAD src0_sel:BYTE_0 src1_sel:DWORD
	v_cmp_ne_u32_e32 vcc, 8, v9
	v_or_b32_sdwa v22, v22, v23 dst_sel:DWORD dst_unused:UNUSED_PAD src0_sel:WORD_0 src1_sel:DWORD
	;; [unrolled: 16-line block ×5, first 2 shown]
	v_cndmask_b32_e32 v26, 23, v14, vcc
	v_lshrrev_b32_e32 v27, 8, v14
	v_cmp_ne_u32_e32 vcc, 21, v9
	v_cndmask_b32_e32 v27, 23, v27, vcc
	v_lshlrev_b16_e32 v27, 8, v27
	v_or_b32_sdwa v26, v26, v27 dst_sel:DWORD dst_unused:UNUSED_PAD src0_sel:BYTE_0 src1_sel:DWORD
	v_lshrrev_b32_e32 v27, 24, v14
	v_cmp_ne_u32_e32 vcc, 23, v9
	v_cndmask_b32_e32 v27, 23, v27, vcc
	v_lshrrev_b32_e32 v36, 16, v14
	v_cmp_ne_u32_e32 vcc, 22, v9
	v_lshlrev_b16_e32 v27, 8, v27
	v_cndmask_b32_e32 v36, 23, v36, vcc
	v_and_b32_e32 v20, 0x800000, v8
	v_or_b32_sdwa v27, v36, v27 dst_sel:WORD_1 dst_unused:UNUSED_PAD src0_sel:BYTE_0 src1_sel:DWORD
	v_mul_f64 v[36:37], v[10:11], 0.5
	v_mul_f64 v[38:39], v[12:13], 0.5
	v_or_b32_sdwa v26, v26, v27 dst_sel:DWORD dst_unused:UNUSED_PAD src0_sel:WORD_0 src1_sel:DWORD
	v_cmp_eq_u32_e32 vcc, 0, v20
	v_cndmask_b32_e32 v41, v26, v14, vcc
	v_cndmask_b32_e32 v40, v25, v15, vcc
	v_lshrrev_b64 v[46:47], 24, v[40:41]
	v_cndmask_b32_e32 v43, v24, v17, vcc
	v_cndmask_b32_e32 v42, v23, v19, vcc
	v_lshrrev_b64 v[47:48], 24, v[42:43]
	;; [unrolled: 3-line block ×3, first 2 shown]
	v_bfe_u32 v8, v8, 23, 1
	v_add_u32_e32 v49, v9, v8
	v_mov_b32_e32 v14, 0
	v_mov_b32_e32 v12, 0
	;; [unrolled: 1-line block ×4, first 2 shown]
	v_lshrrev_b32_e32 v68, 24, v41
	v_lshrrev_b32_e32 v69, 16, v41
	;; [unrolled: 1-line block ×15, first 2 shown]
	v_mov_b32_e32 v15, 0
	v_mov_b32_e32 v13, 0
	;; [unrolled: 1-line block ×4, first 2 shown]
	v_cmp_ne_u32_e32 vcc, 0, v49
	s_and_saveexec_b64 s[6:7], vcc
	s_cbranch_execz .LBB2_288
; %bb.129:
	v_mov_b32_e32 v51, 0
	v_mov_b32_e32 v8, 0
	s_mov_b32 s10, 0
	s_mov_b32 s12, 0x55555555
	v_mov_b32_e32 v10, 0
	v_mov_b32_e32 v12, 0
	v_mov_b32_e32 v14, 0
	v_add_u32_e32 v83, 0xa0, v67
	v_mov_b32_e32 v50, v51
	v_add_u32_e32 v84, 0xa8, v67
	v_add_u32_e32 v85, 0xb0, v67
	;; [unrolled: 1-line block ×4, first 2 shown]
	v_add_u32_e32 v88, -8, v67
	v_add_u32_e32 v89, 0xa8, v67
	v_add_u32_e32 v90, 24, v67
	;; [unrolled: 1-line block ×3, first 2 shown]
	v_mov_b32_e32 v9, 0
	s_mov_b64 s[8:9], 0
	s_mov_b32 s11, 0x3fd00000
	s_mov_b32 s13, 0x3fd55555
	v_mov_b32_e32 v92, 0xd0
	v_mov_b32_e32 v93, 3
	;; [unrolled: 1-line block ×6, first 2 shown]
	s_mov_b64 s[14:15], 0
	s_branch .LBB2_131
.LBB2_130:                              ;   in Loop: Header=BB2_131 Depth=1
	s_or_b64 exec, exec, s[4:5]
	s_add_u32 s14, s14, 1
	s_addc_u32 s15, s15, 0
	v_cmp_eq_u64_e32 vcc, s[14:15], v[49:50]
	s_or_b64 s[8:9], vcc, s[8:9]
	s_andn2_b64 exec, exec, s[8:9]
	s_cbranch_execz .LBB2_287
.LBB2_131:                              ; =>This Loop Header: Depth=1
                                        ;     Child Loop BB2_190 Depth 2
                                        ;     Child Loop BB2_204 Depth 2
	;; [unrolled: 1-line block ×11, first 2 shown]
	s_cmp_eq_u32 s14, 1
	s_cselect_b64 vcc, -1, 0
	s_cmp_eq_u32 s14, 2
	v_cndmask_b32_e32 v16, v44, v80, vcc
	s_cselect_b64 vcc, -1, 0
	s_cmp_eq_u32 s14, 3
	v_cndmask_b32_e32 v16, v16, v77, vcc
	s_cselect_b64 vcc, -1, 0
	s_cmp_eq_u32 s14, 4
	v_cndmask_b32_e32 v16, v16, v48, vcc
	s_cselect_b64 vcc, -1, 0
	s_cmp_eq_u32 s14, 5
	v_cndmask_b32_e32 v16, v16, v45, vcc
	s_cselect_b64 vcc, -1, 0
	s_cmp_eq_u32 s14, 6
	v_cndmask_b32_e32 v16, v16, v79, vcc
	s_cselect_b64 vcc, -1, 0
	s_cmp_eq_u32 s14, 7
	v_cndmask_b32_e32 v16, v16, v76, vcc
	s_cselect_b64 vcc, -1, 0
	s_cmp_eq_u32 s14, 8
	v_cndmask_b32_e32 v16, v16, v73, vcc
	s_cselect_b64 vcc, -1, 0
	s_cmp_eq_u32 s14, 9
	v_cndmask_b32_e32 v16, v16, v42, vcc
	s_cselect_b64 vcc, -1, 0
	s_cmp_eq_u32 s14, 10
	v_cndmask_b32_e32 v16, v16, v81, vcc
	s_cselect_b64 vcc, -1, 0
	s_cmp_eq_u32 s14, 11
	v_cndmask_b32_e32 v16, v16, v75, vcc
	s_cselect_b64 vcc, -1, 0
	s_cmp_eq_u32 s14, 12
	v_cndmask_b32_e32 v16, v16, v47, vcc
	s_cselect_b64 vcc, -1, 0
	s_cmp_eq_u32 s14, 13
	v_cndmask_b32_e32 v16, v16, v43, vcc
	s_cselect_b64 vcc, -1, 0
	s_cmp_eq_u32 s14, 14
	v_cndmask_b32_e32 v16, v16, v78, vcc
	s_cselect_b64 vcc, -1, 0
	s_cmp_eq_u32 s14, 15
	v_cndmask_b32_e32 v16, v16, v72, vcc
	s_cselect_b64 vcc, -1, 0
	s_cmp_eq_u32 s14, 16
	v_cndmask_b32_e32 v16, v16, v70, vcc
	s_cselect_b64 vcc, -1, 0
	s_cmp_eq_u32 s14, 17
	v_cndmask_b32_e32 v16, v16, v40, vcc
	s_cselect_b64 vcc, -1, 0
	s_cmp_eq_u32 s14, 18
	v_cndmask_b32_e32 v16, v16, v82, vcc
	s_cselect_b64 vcc, -1, 0
	s_cmp_eq_u32 s14, 19
	v_cndmask_b32_e32 v16, v16, v71, vcc
	s_cselect_b64 vcc, -1, 0
	s_cmp_eq_u32 s14, 20
	v_cndmask_b32_e32 v16, v16, v46, vcc
	s_cselect_b64 vcc, -1, 0
	s_cmp_eq_u32 s14, 21
	v_cndmask_b32_e32 v16, v16, v41, vcc
	s_cselect_b64 vcc, -1, 0
	s_cmp_eq_u32 s14, 22
	v_cndmask_b32_e32 v16, v16, v74, vcc
	s_cselect_b64 vcc, -1, 0
	s_cmp_eq_u32 s14, 23
	v_cndmask_b32_e32 v16, v16, v69, vcc
	s_cselect_b64 vcc, -1, 0
	v_cndmask_b32_e32 v23, v16, v68, vcc
	v_bfe_u32 v20, v23, 2, 6
	v_cmp_lt_i32_e32 vcc, 1, v20
                                        ; implicit-def: $vgpr24
                                        ; implicit-def: $vgpr16
                                        ; implicit-def: $vgpr21
                                        ; implicit-def: $vgpr17
                                        ; implicit-def: $vgpr22
                                        ; implicit-def: $vgpr18
                                        ; implicit-def: $vgpr19
	s_and_saveexec_b64 s[4:5], vcc
	s_xor_b64 s[4:5], exec, s[4:5]
	s_cbranch_execz .LBB2_143
; %bb.132:                              ;   in Loop: Header=BB2_131 Depth=1
	v_cmp_lt_i32_e32 vcc, 2, v20
                                        ; implicit-def: $vgpr24
                                        ; implicit-def: $vgpr16
                                        ; implicit-def: $vgpr21
                                        ; implicit-def: $vgpr17
                                        ; implicit-def: $vgpr22
                                        ; implicit-def: $vgpr18
                                        ; implicit-def: $vgpr19
	s_and_saveexec_b64 s[16:17], vcc
	s_xor_b64 s[16:17], exec, s[16:17]
	s_cbranch_execz .LBB2_140
; %bb.133:                              ;   in Loop: Header=BB2_131 Depth=1
	;; [unrolled: 12-line block ×3, first 2 shown]
	v_cmp_ne_u32_e32 vcc, 4, v20
	s_and_saveexec_b64 s[20:21], vcc
	s_xor_b64 s[20:21], exec, s[20:21]
	s_or_saveexec_b64 s[20:21], s[20:21]
	v_mov_b32_e32 v20, 4
	v_mov_b32_e32 v22, 6
	;; [unrolled: 1-line block ×8, first 2 shown]
	s_xor_b64 exec, exec, s[20:21]
; %bb.135:                              ;   in Loop: Header=BB2_131 Depth=1
	v_mov_b32_e32 v20, 0
	v_mov_b32_e32 v22, 1
	;; [unrolled: 1-line block ×8, first 2 shown]
; %bb.136:                              ;   in Loop: Header=BB2_131 Depth=1
	s_or_b64 exec, exec, s[20:21]
.LBB2_137:                              ;   in Loop: Header=BB2_131 Depth=1
	s_andn2_saveexec_b64 s[18:19], s[18:19]
; %bb.138:                              ;   in Loop: Header=BB2_131 Depth=1
	v_mov_b32_e32 v20, 2
	v_mov_b32_e32 v22, 3
	;; [unrolled: 1-line block ×8, first 2 shown]
; %bb.139:                              ;   in Loop: Header=BB2_131 Depth=1
	s_or_b64 exec, exec, s[18:19]
.LBB2_140:                              ;   in Loop: Header=BB2_131 Depth=1
	s_andn2_saveexec_b64 s[16:17], s[16:17]
; %bb.141:                              ;   in Loop: Header=BB2_131 Depth=1
	v_mov_b32_e32 v20, 0
	v_mov_b32_e32 v22, 4
	;; [unrolled: 1-line block ×8, first 2 shown]
; %bb.142:                              ;   in Loop: Header=BB2_131 Depth=1
	s_or_b64 exec, exec, s[16:17]
.LBB2_143:                              ;   in Loop: Header=BB2_131 Depth=1
	s_andn2_saveexec_b64 s[4:5], s[4:5]
	s_cbranch_execz .LBB2_147
; %bb.144:                              ;   in Loop: Header=BB2_131 Depth=1
	v_cmp_lt_i32_e32 vcc, 0, v20
	v_mov_b32_e32 v22, 2
	v_mov_b32_e32 v21, 6
	v_mov_b32_e32 v24, 4
	v_mov_b32_e32 v19, 0xd0
	v_mov_b32_e32 v16, s38
	v_mov_b32_e32 v17, s34
	v_mov_b32_e32 v18, s35
	s_and_saveexec_b64 s[16:17], vcc
; %bb.145:                              ;   in Loop: Header=BB2_131 Depth=1
	v_mov_b32_e32 v20, 1
	v_mov_b32_e32 v22, 5
	;; [unrolled: 1-line block ×8, first 2 shown]
; %bb.146:                              ;   in Loop: Header=BB2_131 Depth=1
	s_or_b64 exec, exec, s[16:17]
.LBB2_147:                              ;   in Loop: Header=BB2_131 Depth=1
	s_or_b64 exec, exec, s[4:5]
	buffer_load_dword v25, v19, s[0:3], 0 offen
	buffer_load_dword v26, v19, s[0:3], 0 offen offset:4
	buffer_load_dword v52, v18, s[0:3], 0 offen
	buffer_load_dword v53, v18, s[0:3], 0 offen offset:4
	v_lshl_add_u32 v27, v20, 3, v92
	v_lshl_add_u32 v66, v22, 3, v92
	buffer_load_dword v18, v27, s[0:3], 0 offen offset:64
	buffer_load_dword v19, v27, s[0:3], 0 offen offset:68
	;; [unrolled: 1-line block ×4, first 2 shown]
	buffer_load_dword v56, v17, s[0:3], 0 offen
	buffer_load_dword v57, v17, s[0:3], 0 offen offset:4
	v_lshl_add_u32 v99, v21, 3, v92
	buffer_load_dword v58, v99, s[0:3], 0 offen offset:64
	buffer_load_dword v59, v99, s[0:3], 0 offen offset:68
	;; [unrolled: 1-line block ×6, first 2 shown]
	buffer_load_dword v64, v16, s[0:3], 0 offen
	buffer_load_dword v65, v16, s[0:3], 0 offen offset:4
	v_lshl_add_u32 v27, v24, 3, v92
	buffer_load_dword v16, v27, s[0:3], 0 offen offset:64
	buffer_load_dword v17, v27, s[0:3], 0 offen offset:68
	;; [unrolled: 1-line block ×6, first 2 shown]
	s_waitcnt vmcnt(20)
	v_add_f64 v[25:26], v[25:26], v[52:53]
	s_waitcnt vmcnt(16)
	v_add_f64 v[18:19], v[18:19], v[54:55]
	;; [unrolled: 2-line block ×3, first 2 shown]
	v_add_f64 v[25:26], v[25:26], v[56:57]
	v_add_f64 v[18:19], v[18:19], v[58:59]
	s_waitcnt vmcnt(6)
	v_add_f64 v[25:26], v[25:26], v[64:65]
	s_waitcnt vmcnt(4)
	;; [unrolled: 2-line block ×3, first 2 shown]
	v_add_f64 v[18:19], v[52:53], v[97:98]
	v_fma_f64 v[25:26], v[25:26], s[10:11], -v[0:1]
	v_fma_f64 v[16:17], v[16:17], s[10:11], -v[4:5]
	s_waitcnt vmcnt(0)
	v_add_f64 v[52:53], v[18:19], v[95:96]
	v_mul_f64 v[18:19], v[32:33], v[25:26]
	v_mul_f64 v[16:17], v[30:31], v[16:17]
	v_fma_f64 v[25:26], v[52:53], s[10:11], -v[6:7]
	ds_write2_b64 v67, v[18:19], v[16:17] offset0:1 offset1:11
	ds_write_b64 v67, v[25:26] offset:168
	v_and_b32_sdwa v25, v23, v93 dst_sel:DWORD dst_unused:UNUSED_PAD src0_sel:BYTE_0 src1_sel:DWORD
	v_cmp_lt_i32_e32 vcc, 1, v25
                                        ; implicit-def: $vgpr23
	s_and_saveexec_b64 s[4:5], vcc
	s_xor_b64 s[4:5], exec, s[4:5]
	s_cbranch_execz .LBB2_153
; %bb.148:                              ;   in Loop: Header=BB2_131 Depth=1
	v_cmp_lt_i32_e32 vcc, 2, v25
	s_and_saveexec_b64 s[16:17], vcc
	s_xor_b64 s[16:17], exec, s[16:17]
; %bb.149:                              ;   in Loop: Header=BB2_131 Depth=1
                                        ; implicit-def: $vgpr21
; %bb.150:                              ;   in Loop: Header=BB2_131 Depth=1
	s_or_saveexec_b64 s[16:17], s[16:17]
	v_mov_b32_e32 v23, v24
	s_xor_b64 exec, exec, s[16:17]
; %bb.151:                              ;   in Loop: Header=BB2_131 Depth=1
	v_mov_b32_e32 v23, v21
	v_mov_b32_e32 v20, v24
; %bb.152:                              ;   in Loop: Header=BB2_131 Depth=1
	s_or_b64 exec, exec, s[16:17]
                                        ; implicit-def: $vgpr22
                                        ; implicit-def: $vgpr21
                                        ; implicit-def: $vgpr25
.LBB2_153:                              ;   in Loop: Header=BB2_131 Depth=1
	s_andn2_saveexec_b64 s[4:5], s[4:5]
	s_cbranch_execz .LBB2_157
; %bb.154:                              ;   in Loop: Header=BB2_131 Depth=1
	v_cmp_eq_u32_e32 vcc, 1, v25
	s_and_saveexec_b64 s[16:17], vcc
; %bb.155:                              ;   in Loop: Header=BB2_131 Depth=1
	v_mov_b32_e32 v20, v22
	v_mov_b32_e32 v22, v21
; %bb.156:                              ;   in Loop: Header=BB2_131 Depth=1
	s_or_b64 exec, exec, s[16:17]
	v_mov_b32_e32 v23, v20
	v_mov_b32_e32 v20, v22
.LBB2_157:                              ;   in Loop: Header=BB2_131 Depth=1
	s_or_b64 exec, exec, s[4:5]
	v_lshl_add_u32 v56, v23, 3, v92
	v_lshl_add_u32 v57, v20, 3, v92
	buffer_load_dword v20, v56, s[0:3], 0 offen
	buffer_load_dword v21, v56, s[0:3], 0 offen offset:4
	buffer_load_dword v22, v57, s[0:3], 0 offen
	buffer_load_dword v25, v56, s[0:3], 0 offen offset:68
	buffer_load_dword v26, v56, s[0:3], 0 offen offset:128
	;; [unrolled: 1-line block ×9, first 2 shown]
	s_mov_b64 s[4:5], 0
                                        ; implicit-def: $vgpr60
	s_waitcnt vmcnt(10)
	v_add_f64 v[20:21], v[20:21], -v[0:1]
	s_waitcnt vmcnt(6)
	v_add_f64 v[24:25], v[24:25], -v[4:5]
	s_waitcnt vmcnt(5)
	v_add_f64 v[22:23], v[22:23], -v[0:1]
	s_waitcnt vmcnt(2)
	v_add_f64 v[58:59], v[52:53], -v[4:5]
	v_mul_f64 v[52:53], v[32:33], v[20:21]
	v_mul_f64 v[56:57], v[30:31], v[24:25]
	;; [unrolled: 1-line block ×3, first 2 shown]
	s_waitcnt vmcnt(1)
	v_add_f64 v[24:25], v[26:27], -v[6:7]
	s_waitcnt vmcnt(0)
	v_add_f64 v[26:27], v[54:55], -v[6:7]
	v_mul_f64 v[22:23], v[30:31], v[58:59]
                                        ; implicit-def: $vgpr54_vgpr55
	ds_write2_b64 v67, v[52:53], v[20:21] offset1:2
	ds_write2_b64 v67, v[56:57], v[22:23] offset0:10 offset1:12
	ds_write2_b64 v67, v[24:25], v[26:27] offset0:20 offset1:22
	v_cmp_ngt_f64_e32 vcc, 1.0, v[56:57]
	s_and_saveexec_b64 s[16:17], vcc
	s_xor_b64 s[16:17], exec, s[16:17]
	s_cbranch_execz .LBB2_161
; %bb.158:                              ;   in Loop: Header=BB2_131 Depth=1
	v_cmp_gt_f64_e32 vcc, 1.0, v[22:23]
	v_mov_b32_e32 v60, 9
                                        ; implicit-def: $vgpr54_vgpr55
	s_and_saveexec_b64 s[18:19], vcc
	s_xor_b64 s[18:19], exec, s[18:19]
	s_cbranch_execz .LBB2_160
; %bb.159:                              ;   in Loop: Header=BB2_131 Depth=1
	v_add_f64 v[54:55], v[56:57], -v[22:23]
	v_add_f64 v[56:57], -v[22:23], 1.0
	v_add_f64 v[52:53], v[52:53], -v[20:21]
	s_mov_b64 s[4:5], exec
	v_div_scale_f64 v[58:59], s[20:21], v[54:55], v[54:55], v[56:57]
	v_rcp_f64_e32 v[60:61], v[58:59]
	v_fma_f64 v[62:63], -v[58:59], v[60:61], 1.0
	v_fma_f64 v[60:61], v[60:61], v[62:63], v[60:61]
	v_div_scale_f64 v[62:63], vcc, v[56:57], v[54:55], v[56:57]
	v_fma_f64 v[64:65], -v[58:59], v[60:61], 1.0
	v_fma_f64 v[60:61], v[60:61], v[64:65], v[60:61]
	v_mul_f64 v[64:65], v[62:63], v[60:61]
	v_fma_f64 v[58:59], -v[58:59], v[64:65], v[62:63]
	v_div_fmas_f64 v[58:59], v[58:59], v[60:61], v[64:65]
	v_mov_b32_e32 v60, 8
	v_div_fixup_f64 v[54:55], v[58:59], v[54:55], v[56:57]
	v_fma_f64 v[56:57], v[52:53], v[54:55], v[20:21]
	v_mov_b32_e32 v52, v94
	ds_write2_b64 v67, v[56:57], v[51:52] offset0:9 offset1:19
.LBB2_160:                              ;   in Loop: Header=BB2_131 Depth=1
	s_or_b64 exec, exec, s[18:19]
	s_and_b64 s[4:5], s[4:5], exec
                                        ; implicit-def: $vgpr52_vgpr53
                                        ; implicit-def: $vgpr56_vgpr57
.LBB2_161:                              ;   in Loop: Header=BB2_131 Depth=1
	s_or_saveexec_b64 s[16:17], s[16:17]
	v_mov_b32_e32 v59, v27
	v_mov_b32_e32 v61, 9
	;; [unrolled: 1-line block ×3, first 2 shown]
	s_xor_b64 exec, exec, s[16:17]
	s_cbranch_execz .LBB2_165
; %bb.162:                              ;   in Loop: Header=BB2_131 Depth=1
	v_cmp_le_f64_e32 vcc, 1.0, v[22:23]
	v_mov_b32_e32 v61, 8
	s_mov_b64 s[20:21], s[4:5]
	v_mov_b32_e32 v60, 8
	ds_write2_b64 v67, v[52:53], v[56:57] offset0:9 offset1:19
	ds_write_b64 v67, v[24:25] offset:232
                                        ; implicit-def: $vgpr54_vgpr55
	s_and_saveexec_b64 s[18:19], vcc
	s_cbranch_execz .LBB2_164
; %bb.163:                              ;   in Loop: Header=BB2_131 Depth=1
	v_add_f64 v[54:55], v[22:23], -v[56:57]
	v_add_f64 v[56:57], -v[56:57], 1.0
	v_mov_b32_e32 v60, 7
	v_div_scale_f64 v[58:59], s[20:21], v[54:55], v[54:55], v[56:57]
	s_or_b64 s[20:21], s[4:5], exec
	v_rcp_f64_e32 v[62:63], v[58:59]
	v_fma_f64 v[64:65], -v[58:59], v[62:63], 1.0
	v_fma_f64 v[62:63], v[62:63], v[64:65], v[62:63]
	v_div_scale_f64 v[64:65], vcc, v[56:57], v[54:55], v[56:57]
	v_fma_f64 v[95:96], -v[58:59], v[62:63], 1.0
	v_fma_f64 v[62:63], v[62:63], v[95:96], v[62:63]
	v_mul_f64 v[95:96], v[64:65], v[62:63]
	v_fma_f64 v[58:59], -v[58:59], v[95:96], v[64:65]
	v_div_fmas_f64 v[58:59], v[58:59], v[62:63], v[95:96]
	v_add_f64 v[62:63], v[20:21], -v[52:53]
	v_div_fixup_f64 v[54:55], v[58:59], v[54:55], v[56:57]
	v_fma_f64 v[56:57], v[62:63], v[54:55], v[52:53]
	v_mov_b32_e32 v52, v94
	ds_write2_b64 v67, v[56:57], v[51:52] offset0:8 offset1:18
.LBB2_164:                              ;   in Loop: Header=BB2_131 Depth=1
	s_or_b64 exec, exec, s[18:19]
	v_mov_b32_e32 v59, v25
	s_andn2_b64 s[4:5], s[4:5], exec
	s_and_b64 s[18:19], s[20:21], exec
	v_mov_b32_e32 v58, v24
	v_mov_b32_e32 v24, v26
	s_or_b64 s[4:5], s[4:5], s[18:19]
	v_mov_b32_e32 v25, v27
.LBB2_165:                              ;   in Loop: Header=BB2_131 Depth=1
	s_or_b64 exec, exec, s[16:17]
	s_and_saveexec_b64 s[16:17], s[4:5]
	s_cbranch_execz .LBB2_167
; %bb.166:                              ;   in Loop: Header=BB2_131 Depth=1
	v_add_f64 v[24:25], v[24:25], -v[58:59]
	v_lshl_add_u32 v26, v61, 3, v67
	v_fma_f64 v[24:25], v[54:55], v[24:25], v[58:59]
	ds_write_b64 v26, v[24:25] offset:160
.LBB2_167:                              ;   in Loop: Header=BB2_131 Depth=1
	s_or_b64 exec, exec, s[16:17]
	v_cmp_ngt_f64_e32 vcc, 1.0, v[22:23]
	s_mov_b64 s[4:5], 0
                                        ; implicit-def: $vgpr24_vgpr25
                                        ; implicit-def: $vgpr26_vgpr27
	s_and_saveexec_b64 s[16:17], vcc
	s_xor_b64 s[16:17], exec, s[16:17]
	s_cbranch_execz .LBB2_171
; %bb.168:                              ;   in Loop: Header=BB2_131 Depth=1
	v_cmp_gt_f64_e32 vcc, 1.0, v[16:17]
                                        ; implicit-def: $vgpr24_vgpr25
                                        ; implicit-def: $vgpr26_vgpr27
	s_and_saveexec_b64 s[18:19], vcc
	s_cbranch_execz .LBB2_170
; %bb.169:                              ;   in Loop: Header=BB2_131 Depth=1
	v_add_f64 v[22:23], v[22:23], -v[16:17]
	v_add_f64 v[24:25], -v[16:17], 1.0
	v_add_f64 v[20:21], v[20:21], -v[18:19]
	s_mov_b64 s[4:5], exec
	v_div_scale_f64 v[26:27], s[20:21], v[22:23], v[22:23], v[24:25]
	v_rcp_f64_e32 v[52:53], v[26:27]
	v_fma_f64 v[54:55], -v[26:27], v[52:53], 1.0
	v_fma_f64 v[52:53], v[52:53], v[54:55], v[52:53]
	v_div_scale_f64 v[54:55], vcc, v[24:25], v[22:23], v[24:25]
	v_fma_f64 v[56:57], -v[26:27], v[52:53], 1.0
	v_fma_f64 v[52:53], v[52:53], v[56:57], v[52:53]
	v_mul_f64 v[56:57], v[54:55], v[52:53]
	v_fma_f64 v[26:27], -v[26:27], v[56:57], v[54:55]
	v_div_fmas_f64 v[26:27], v[26:27], v[52:53], v[56:57]
	v_mov_b32_e32 v52, v94
	v_div_fixup_f64 v[24:25], v[26:27], v[22:23], v[24:25]
	v_fma_f64 v[26:27], v[20:21], v[24:25], v[18:19]
	v_lshl_add_u32 v18, v60, 3, v67
	ds_write_b64 v18, v[51:52] offset:80
.LBB2_170:                              ;   in Loop: Header=BB2_131 Depth=1
	s_or_b64 exec, exec, s[18:19]
	s_and_b64 s[4:5], s[4:5], exec
                                        ; implicit-def: $vgpr20_vgpr21
                                        ; implicit-def: $vgpr22_vgpr23
.LBB2_171:                              ;   in Loop: Header=BB2_131 Depth=1
	s_or_saveexec_b64 s[16:17], s[16:17]
	v_mov_b32_e32 v19, 2
	v_mov_b32_e32 v18, -1
	v_mov_b32_e32 v52, v84
	v_mov_b32_e32 v53, v60
	s_xor_b64 exec, exec, s[16:17]
	s_cbranch_execz .LBB2_175
; %bb.172:                              ;   in Loop: Header=BB2_131 Depth=1
	v_lshl_add_u32 v53, v60, 3, v67
	ds_write2_b64 v53, v[20:21], v[22:23] offset1:10
	ds_read2_b64 v[16:19], v67 offset0:11 offset1:22
	s_mov_b64 s[20:21], s[4:5]
                                        ; implicit-def: $vgpr24_vgpr25
                                        ; implicit-def: $vgpr26_vgpr27
	s_waitcnt lgkmcnt(0)
	v_cmp_le_f64_e32 vcc, 1.0, v[16:17]
	ds_write_b64 v53, v[18:19] offset:160
	s_and_saveexec_b64 s[18:19], vcc
	s_cbranch_execz .LBB2_174
; %bb.173:                              ;   in Loop: Header=BB2_131 Depth=1
	ds_read_b64 v[22:23], v67 offset:96
	ds_read2_b64 v[18:21], v67 offset0:1 offset1:2
	v_mov_b32_e32 v52, v94
	ds_write_b64 v53, v[51:52] offset:72
	s_waitcnt lgkmcnt(2)
	v_add_f64 v[24:25], v[16:17], -v[22:23]
	v_add_f64 v[22:23], -v[22:23], 1.0
	s_waitcnt lgkmcnt(1)
	v_add_f64 v[18:19], v[18:19], -v[20:21]
	v_div_scale_f64 v[26:27], s[20:21], v[24:25], v[24:25], v[22:23]
	s_or_b64 s[20:21], s[4:5], exec
	v_rcp_f64_e32 v[54:55], v[26:27]
	v_fma_f64 v[56:57], -v[26:27], v[54:55], 1.0
	v_fma_f64 v[54:55], v[54:55], v[56:57], v[54:55]
	v_div_scale_f64 v[56:57], vcc, v[22:23], v[24:25], v[22:23]
	v_fma_f64 v[58:59], -v[26:27], v[54:55], 1.0
	v_fma_f64 v[54:55], v[54:55], v[58:59], v[54:55]
	v_mul_f64 v[58:59], v[56:57], v[54:55]
	v_fma_f64 v[26:27], -v[26:27], v[58:59], v[56:57]
	v_div_fmas_f64 v[26:27], v[26:27], v[54:55], v[58:59]
	v_div_fixup_f64 v[24:25], v[26:27], v[24:25], v[22:23]
	v_fma_f64 v[26:27], v[24:25], v[18:19], v[20:21]
.LBB2_174:                              ;   in Loop: Header=BB2_131 Depth=1
	s_or_b64 exec, exec, s[18:19]
	s_andn2_b64 s[4:5], s[4:5], exec
	s_and_b64 s[18:19], s[20:21], exec
	v_add_u32_e32 v53, -1, v60
	v_mov_b32_e32 v19, 1
	v_mov_b32_e32 v18, -2
	s_or_b64 s[4:5], s[4:5], s[18:19]
	v_mov_b32_e32 v52, v85
.LBB2_175:                              ;   in Loop: Header=BB2_131 Depth=1
	s_or_b64 exec, exec, s[16:17]
	s_and_saveexec_b64 s[16:17], s[4:5]
	s_cbranch_execz .LBB2_177
; %bb.176:                              ;   in Loop: Header=BB2_131 Depth=1
	v_lshl_add_u32 v53, v53, 3, v67
	ds_write_b64 v53, v[26:27]
	ds_read_b64 v[20:21], v52
	v_lshl_add_u32 v16, v19, 3, v67
	ds_read_b64 v[22:23], v16 offset:160
	ds_read_b64 v[16:17], v67 offset:88
	s_waitcnt lgkmcnt(1)
	v_add_f64 v[22:23], v[22:23], -v[20:21]
	v_fma_f64 v[19:20], v[24:25], v[22:23], v[20:21]
	ds_write_b64 v53, v[19:20] offset:160
	v_add_u32_e32 v53, v18, v60
.LBB2_177:                              ;   in Loop: Header=BB2_131 Depth=1
	s_or_b64 exec, exec, s[16:17]
	s_waitcnt lgkmcnt(1)
	v_cmp_ngt_f64_e32 vcc, 1.0, v[16:17]
	s_mov_b64 s[4:5], 0
                                        ; implicit-def: $vgpr18_vgpr19
                                        ; implicit-def: $vgpr20_vgpr21
	s_and_saveexec_b64 s[16:17], vcc
	s_xor_b64 s[16:17], exec, s[16:17]
	s_cbranch_execz .LBB2_181
; %bb.178:                              ;   in Loop: Header=BB2_131 Depth=1
	ds_read_b64 v[22:23], v67 offset:80
                                        ; implicit-def: $vgpr18_vgpr19
                                        ; implicit-def: $vgpr20_vgpr21
	s_waitcnt lgkmcnt(0)
	v_cmp_gt_f64_e32 vcc, 1.0, v[22:23]
	s_and_saveexec_b64 s[18:19], vcc
	s_cbranch_execz .LBB2_180
; %bb.179:                              ;   in Loop: Header=BB2_131 Depth=1
	v_add_f64 v[16:17], v[16:17], -v[22:23]
	v_add_f64 v[18:19], -v[22:23], 1.0
	s_mov_b64 s[4:5], exec
	v_mov_b32_e32 v52, v94
	v_div_scale_f64 v[20:21], s[20:21], v[16:17], v[16:17], v[18:19]
	v_rcp_f64_e32 v[22:23], v[20:21]
	v_fma_f64 v[24:25], -v[20:21], v[22:23], 1.0
	v_fma_f64 v[22:23], v[22:23], v[24:25], v[22:23]
	v_div_scale_f64 v[24:25], vcc, v[18:19], v[16:17], v[18:19]
	v_fma_f64 v[26:27], -v[20:21], v[22:23], 1.0
	v_fma_f64 v[22:23], v[22:23], v[26:27], v[22:23]
	v_mul_f64 v[26:27], v[24:25], v[22:23]
	v_fma_f64 v[20:21], -v[20:21], v[26:27], v[24:25]
	v_div_fmas_f64 v[24:25], v[20:21], v[22:23], v[26:27]
	ds_read2_b64 v[20:23], v67 offset1:1
	v_div_fixup_f64 v[18:19], v[24:25], v[16:17], v[18:19]
	s_waitcnt lgkmcnt(0)
	v_add_f64 v[16:17], v[22:23], -v[20:21]
	v_fma_f64 v[20:21], v[18:19], v[16:17], v[20:21]
	v_lshl_add_u32 v16, v53, 3, v67
	ds_write_b64 v16, v[51:52] offset:80
.LBB2_180:                              ;   in Loop: Header=BB2_131 Depth=1
	s_or_b64 exec, exec, s[18:19]
	s_and_b64 s[4:5], s[4:5], exec
                                        ; implicit-def: $vgpr16_vgpr17
.LBB2_181:                              ;   in Loop: Header=BB2_131 Depth=1
	s_or_saveexec_b64 s[16:17], s[16:17]
	v_mov_b32_e32 v24, 1
	v_mov_b32_e32 v23, -1
	v_mov_b32_e32 v25, v83
	v_mov_b32_e32 v22, v53
	s_xor_b64 exec, exec, s[16:17]
	s_cbranch_execz .LBB2_185
; %bb.182:                              ;   in Loop: Header=BB2_131 Depth=1
	ds_read_b64 v[18:19], v67 offset:8
	v_lshl_add_u32 v22, v53, 3, v67
	s_mov_b64 s[20:21], s[4:5]
                                        ; implicit-def: $vgpr20_vgpr21
	s_waitcnt lgkmcnt(0)
	ds_write2_b64 v22, v[18:19], v[16:17] offset1:10
	ds_read2_b64 v[16:19], v67 offset0:10 offset1:21
	s_waitcnt lgkmcnt(0)
	v_cmp_le_f64_e32 vcc, 1.0, v[16:17]
	ds_write_b64 v22, v[18:19] offset:160
                                        ; implicit-def: $vgpr18_vgpr19
	s_and_saveexec_b64 s[18:19], vcc
	s_cbranch_execz .LBB2_184
; %bb.183:                              ;   in Loop: Header=BB2_131 Depth=1
	ds_read_b64 v[18:19], v67 offset:88
	ds_read2_b64 v[23:26], v67 offset1:1
	v_mov_b32_e32 v52, v94
	ds_write_b64 v22, v[51:52] offset:72
	s_waitcnt lgkmcnt(2)
	v_add_f64 v[16:17], v[16:17], -v[18:19]
	v_add_f64 v[18:19], -v[18:19], 1.0
	v_div_scale_f64 v[20:21], s[20:21], v[16:17], v[16:17], v[18:19]
	s_or_b64 s[20:21], s[4:5], exec
	v_rcp_f64_e32 v[54:55], v[20:21]
	v_fma_f64 v[56:57], -v[20:21], v[54:55], 1.0
	v_fma_f64 v[54:55], v[54:55], v[56:57], v[54:55]
	v_div_scale_f64 v[56:57], vcc, v[18:19], v[16:17], v[18:19]
	v_fma_f64 v[58:59], -v[20:21], v[54:55], 1.0
	v_fma_f64 v[54:55], v[54:55], v[58:59], v[54:55]
	v_mul_f64 v[58:59], v[56:57], v[54:55]
	v_fma_f64 v[20:21], -v[20:21], v[58:59], v[56:57]
	v_div_fmas_f64 v[20:21], v[20:21], v[54:55], v[58:59]
	v_div_fixup_f64 v[18:19], v[20:21], v[16:17], v[18:19]
	s_waitcnt lgkmcnt(1)
	v_add_f64 v[16:17], v[23:24], -v[25:26]
	v_fma_f64 v[20:21], v[18:19], v[16:17], v[25:26]
.LBB2_184:                              ;   in Loop: Header=BB2_131 Depth=1
	s_or_b64 exec, exec, s[18:19]
	s_andn2_b64 s[4:5], s[4:5], exec
	s_and_b64 s[18:19], s[20:21], exec
	v_add_u32_e32 v22, -1, v53
	v_mov_b32_e32 v24, 0
	v_mov_b32_e32 v23, -2
	s_or_b64 s[4:5], s[4:5], s[18:19]
	v_mov_b32_e32 v25, v84
.LBB2_185:                              ;   in Loop: Header=BB2_131 Depth=1
	s_or_b64 exec, exec, s[16:17]
	s_and_saveexec_b64 s[16:17], s[4:5]
	s_cbranch_execz .LBB2_187
; %bb.186:                              ;   in Loop: Header=BB2_131 Depth=1
	v_lshl_add_u32 v22, v22, 3, v67
	ds_write_b64 v22, v[20:21]
	v_lshl_add_u32 v20, v24, 3, v67
	ds_read_b64 v[16:17], v25
	ds_read_b64 v[20:21], v20 offset:160
	s_waitcnt lgkmcnt(0)
	v_add_f64 v[20:21], v[20:21], -v[16:17]
	v_fma_f64 v[16:17], v[18:19], v[20:21], v[16:17]
	ds_write_b64 v22, v[16:17] offset:160
	v_add_u32_e32 v22, v23, v53
.LBB2_187:                              ;   in Loop: Header=BB2_131 Depth=1
	s_or_b64 exec, exec, s[16:17]
	v_add_u32_e32 v16, 1, v22
	v_cmp_ne_u32_e32 vcc, 10, v16
	v_mov_b32_e32 v26, 0
	s_and_saveexec_b64 s[4:5], vcc
	s_cbranch_execz .LBB2_201
; %bb.188:                              ;   in Loop: Header=BB2_131 Depth=1
	v_add_co_u32_e32 v18, vcc, -9, v22
	v_addc_co_u32_e64 v19, s[16:17], 0, -1, vcc
	v_mov_b32_e32 v17, v51
	v_lshl_add_u32 v27, v22, 3, v86
	v_mov_b32_e32 v26, 0
	v_mov_b32_e32 v20, 9
	s_mov_b64 s[16:17], 0
	v_mov_b32_e32 v21, 0
	s_branch .LBB2_190
.LBB2_189:                              ;   in Loop: Header=BB2_190 Depth=2
	s_or_b64 exec, exec, s[20:21]
	v_add_co_u32_e32 v22, vcc, 1, v16
	v_addc_co_u32_e32 v23, vcc, 0, v17, vcc
	v_add_co_u32_e32 v18, vcc, 1, v18
	v_addc_co_u32_e32 v19, vcc, 0, v19, vcc
	v_cmp_eq_u64_e32 vcc, 0, v[18:19]
	v_mov_b32_e32 v21, v17
	v_mov_b32_e32 v20, v16
	;; [unrolled: 1-line block ×3, first 2 shown]
	v_add_u32_e32 v27, 8, v27
	s_or_b64 s[16:17], vcc, s[16:17]
	v_mov_b32_e32 v17, v23
	s_andn2_b64 exec, exec, s[16:17]
	s_cbranch_execz .LBB2_200
.LBB2_190:                              ;   Parent Loop BB2_131 Depth=1
                                        ; =>  This Inner Loop Header: Depth=2
	v_lshl_add_u32 v53, v20, 3, v67
	ds_read_b64 v[22:23], v53 offset:80
	s_mov_b64 s[18:19], 0
                                        ; implicit-def: $vgpr20_vgpr21
	s_waitcnt lgkmcnt(0)
	v_cmp_le_f64_e32 vcc, 0, v[22:23]
	s_and_saveexec_b64 s[20:21], vcc
	s_xor_b64 s[20:21], exec, s[20:21]
	s_cbranch_execnz .LBB2_193
; %bb.191:                              ;   in Loop: Header=BB2_190 Depth=2
	s_andn2_saveexec_b64 s[20:21], s[20:21]
	s_cbranch_execnz .LBB2_196
.LBB2_192:                              ;   in Loop: Header=BB2_190 Depth=2
	s_or_b64 exec, exec, s[20:21]
	s_and_saveexec_b64 s[20:21], s[18:19]
	s_cbranch_execz .LBB2_189
	s_branch .LBB2_199
.LBB2_193:                              ;   in Loop: Header=BB2_190 Depth=2
	v_lshl_add_u32 v24, v26, 3, v67
	ds_write_b64 v24, v[22:23] offset:80
	ds_read_b64 v[20:21], v53
	s_waitcnt lgkmcnt(0)
	ds_write_b64 v24, v[20:21]
	ds_read_b64 v[20:21], v53 offset:160
	s_waitcnt lgkmcnt(0)
	ds_write_b64 v24, v[20:21] offset:160
	ds_read_b64 v[22:23], v27 offset:80
                                        ; implicit-def: $vgpr20_vgpr21
	s_waitcnt lgkmcnt(0)
	v_cmp_gt_f64_e32 vcc, 0, v[22:23]
	s_and_saveexec_b64 s[22:23], vcc
	s_cbranch_execz .LBB2_195
; %bb.194:                              ;   in Loop: Header=BB2_190 Depth=2
	ds_read_b64 v[20:21], v53 offset:80
	v_add_f64 v[54:55], -v[22:23], 0
	v_mov_b32_e32 v52, v51
	ds_write_b64 v24, v[51:52] offset:88
	s_mov_b64 s[18:19], exec
	s_waitcnt lgkmcnt(1)
	v_add_f64 v[20:21], v[20:21], -v[22:23]
	v_div_scale_f64 v[22:23], s[24:25], v[20:21], v[20:21], v[54:55]
	v_rcp_f64_e32 v[56:57], v[22:23]
	v_fma_f64 v[58:59], -v[22:23], v[56:57], 1.0
	v_fma_f64 v[56:57], v[56:57], v[58:59], v[56:57]
	v_div_scale_f64 v[58:59], vcc, v[54:55], v[20:21], v[54:55]
	v_fma_f64 v[60:61], -v[22:23], v[56:57], 1.0
	v_fma_f64 v[56:57], v[56:57], v[60:61], v[56:57]
	v_mul_f64 v[60:61], v[58:59], v[56:57]
	v_fma_f64 v[22:23], -v[22:23], v[60:61], v[58:59]
	v_div_fmas_f64 v[22:23], v[22:23], v[56:57], v[60:61]
	ds_read_b64 v[56:57], v27
	ds_read_b64 v[58:59], v53
	s_waitcnt lgkmcnt(0)
	v_add_f64 v[58:59], v[58:59], -v[56:57]
	v_div_fixup_f64 v[20:21], v[22:23], v[20:21], v[54:55]
	v_fma_f64 v[22:23], v[20:21], v[58:59], v[56:57]
	ds_write_b64 v24, v[22:23] offset:8
	ds_read_b64 v[22:23], v27 offset:160
	ds_read_b64 v[24:25], v53 offset:160
	s_waitcnt lgkmcnt(0)
	v_add_f64 v[24:25], v[24:25], -v[22:23]
	v_fma_f64 v[20:21], v[20:21], v[24:25], v[22:23]
.LBB2_195:                              ;   in Loop: Header=BB2_190 Depth=2
	s_or_b64 exec, exec, s[22:23]
	v_add_u32_e32 v26, 1, v26
	s_and_b64 s[18:19], s[18:19], exec
                                        ; implicit-def: $vgpr22_vgpr23
                                        ; implicit-def: $vgpr53
	s_andn2_saveexec_b64 s[20:21], s[20:21]
	s_cbranch_execz .LBB2_192
.LBB2_196:                              ;   in Loop: Header=BB2_190 Depth=2
	ds_read_b64 v[24:25], v27 offset:80
	s_mov_b64 s[24:25], s[18:19]
                                        ; implicit-def: $vgpr20_vgpr21
	s_waitcnt lgkmcnt(0)
	v_cmp_le_f64_e32 vcc, 0, v[24:25]
	s_and_saveexec_b64 s[22:23], vcc
	s_cbranch_execz .LBB2_198
; %bb.197:                              ;   in Loop: Header=BB2_190 Depth=2
	v_add_f64 v[20:21], v[24:25], -v[22:23]
	v_add_f64 v[22:23], -v[22:23], 0
	v_mov_b32_e32 v52, v51
	v_div_scale_f64 v[24:25], s[24:25], v[20:21], v[20:21], v[22:23]
	s_or_b64 s[24:25], s[18:19], exec
	v_rcp_f64_e32 v[54:55], v[24:25]
	v_fma_f64 v[56:57], -v[24:25], v[54:55], 1.0
	v_fma_f64 v[54:55], v[54:55], v[56:57], v[54:55]
	v_div_scale_f64 v[56:57], vcc, v[22:23], v[20:21], v[22:23]
	v_fma_f64 v[58:59], -v[24:25], v[54:55], 1.0
	v_fma_f64 v[54:55], v[54:55], v[58:59], v[54:55]
	v_mul_f64 v[58:59], v[56:57], v[54:55]
	v_fma_f64 v[24:25], -v[24:25], v[58:59], v[56:57]
	v_div_fmas_f64 v[24:25], v[24:25], v[54:55], v[58:59]
	v_lshl_add_u32 v58, v26, 3, v67
	ds_write_b64 v58, v[51:52] offset:80
	ds_read_b64 v[54:55], v53
	ds_read_b64 v[56:57], v27
	s_waitcnt lgkmcnt(0)
	v_add_f64 v[56:57], v[56:57], -v[54:55]
	v_div_fixup_f64 v[20:21], v[24:25], v[20:21], v[22:23]
	v_fma_f64 v[22:23], v[20:21], v[56:57], v[54:55]
	ds_write_b64 v58, v[22:23]
	ds_read_b64 v[22:23], v53 offset:160
	ds_read_b64 v[24:25], v27 offset:160
	s_waitcnt lgkmcnt(0)
	v_add_f64 v[24:25], v[24:25], -v[22:23]
	v_fma_f64 v[20:21], v[20:21], v[24:25], v[22:23]
.LBB2_198:                              ;   in Loop: Header=BB2_190 Depth=2
	s_or_b64 exec, exec, s[22:23]
	s_andn2_b64 s[18:19], s[18:19], exec
	s_and_b64 s[22:23], s[24:25], exec
	s_or_b64 s[18:19], s[18:19], s[22:23]
	s_or_b64 exec, exec, s[20:21]
	s_and_saveexec_b64 s[20:21], s[18:19]
	s_cbranch_execz .LBB2_189
.LBB2_199:                              ;   in Loop: Header=BB2_190 Depth=2
	v_lshl_add_u32 v22, v26, 3, v67
	v_add_u32_e32 v26, 1, v26
	ds_write_b64 v22, v[20:21] offset:160
	s_branch .LBB2_189
.LBB2_200:                              ;   in Loop: Header=BB2_131 Depth=1
	s_or_b64 exec, exec, s[16:17]
.LBB2_201:                              ;   in Loop: Header=BB2_131 Depth=1
	s_or_b64 exec, exec, s[4:5]
	v_mov_b32_e32 v16, 10
	v_mov_b32_e32 v17, 0
	v_cmp_ne_u32_e32 vcc, 0, v26
	s_and_saveexec_b64 s[4:5], vcc
	s_cbranch_execz .LBB2_215
; %bb.202:                              ;   in Loop: Header=BB2_131 Depth=1
	v_add_u32_e32 v16, -1, v26
	v_ashrrev_i32_e32 v17, 31, v16
	v_add_co_u32_e32 v18, vcc, 1, v16
	v_lshl_add_u32 v27, v26, 3, v87
	v_addc_co_u32_e32 v19, vcc, 0, v17, vcc
	v_mov_b32_e32 v53, 9
	v_mov_b32_e32 v20, 0
	s_mov_b64 s[16:17], 0
	v_mov_b32_e32 v21, 0
	s_branch .LBB2_204
.LBB2_203:                              ;   in Loop: Header=BB2_204 Depth=2
	s_or_b64 exec, exec, s[20:21]
	v_add_co_u32_e32 v22, vcc, -1, v16
	v_addc_co_u32_e32 v23, vcc, -1, v17, vcc
	v_add_co_u32_e32 v18, vcc, -1, v18
	v_addc_co_u32_e32 v19, vcc, -1, v19, vcc
	v_cmp_eq_u64_e32 vcc, 0, v[18:19]
	v_mov_b32_e32 v21, v17
	v_mov_b32_e32 v20, v16
	;; [unrolled: 1-line block ×3, first 2 shown]
	v_add_u32_e32 v27, -8, v27
	s_or_b64 s[16:17], vcc, s[16:17]
	v_mov_b32_e32 v53, v25
	v_mov_b32_e32 v17, v23
	s_andn2_b64 exec, exec, s[16:17]
	s_cbranch_execz .LBB2_214
.LBB2_204:                              ;   Parent Loop BB2_131 Depth=1
                                        ; =>  This Inner Loop Header: Depth=2
	v_lshl_add_u32 v54, v20, 3, v67
	ds_read_b64 v[23:24], v54
	v_add_u32_e32 v52, 0xffffff60, v27
	s_mov_b64 s[18:19], 0
                                        ; implicit-def: $vgpr21_vgpr22
	s_waitcnt lgkmcnt(0)
	v_cmp_ngt_f64_e32 vcc, 1.0, v[23:24]
	s_and_saveexec_b64 s[20:21], vcc
	s_xor_b64 s[20:21], exec, s[20:21]
	s_cbranch_execz .LBB2_208
; %bb.205:                              ;   in Loop: Header=BB2_204 Depth=2
	ds_read_b64 v[25:26], v52
                                        ; implicit-def: $vgpr21_vgpr22
	s_waitcnt lgkmcnt(0)
	v_cmp_gt_f64_e32 vcc, 1.0, v[25:26]
	s_and_saveexec_b64 s[22:23], vcc
	s_xor_b64 s[22:23], exec, s[22:23]
	s_cbranch_execz .LBB2_207
; %bb.206:                              ;   in Loop: Header=BB2_204 Depth=2
	v_add_f64 v[21:22], v[23:24], -v[25:26]
	v_add_f64 v[23:24], -v[25:26], 1.0
	v_mov_b32_e32 v52, v94
	s_mov_b64 s[18:19], exec
	v_div_scale_f64 v[25:26], s[24:25], v[21:22], v[21:22], v[23:24]
	v_rcp_f64_e32 v[55:56], v[25:26]
	v_fma_f64 v[57:58], -v[25:26], v[55:56], 1.0
	v_fma_f64 v[55:56], v[55:56], v[57:58], v[55:56]
	v_div_scale_f64 v[57:58], vcc, v[23:24], v[21:22], v[23:24]
	v_fma_f64 v[59:60], -v[25:26], v[55:56], 1.0
	v_fma_f64 v[55:56], v[55:56], v[59:60], v[55:56]
	v_mul_f64 v[59:60], v[57:58], v[55:56]
	v_fma_f64 v[25:26], -v[25:26], v[59:60], v[57:58]
	v_div_fmas_f64 v[25:26], v[25:26], v[55:56], v[59:60]
	v_lshl_add_u32 v59, v53, 3, v67
	v_add_u32_e32 v55, 0xffffffb0, v27
	ds_write_b64 v59, v[51:52]
	ds_read_b64 v[55:56], v55
	ds_read_b64 v[57:58], v54 offset:80
	v_div_fixup_f64 v[21:22], v[25:26], v[21:22], v[23:24]
	s_waitcnt lgkmcnt(0)
	v_add_f64 v[23:24], v[57:58], -v[55:56]
	v_fma_f64 v[23:24], v[21:22], v[23:24], v[55:56]
	ds_write_b64 v59, v[23:24] offset:80
.LBB2_207:                              ;   in Loop: Header=BB2_204 Depth=2
	s_or_b64 exec, exec, s[22:23]
	s_and_b64 s[18:19], s[18:19], exec
                                        ; implicit-def: $vgpr54
                                        ; implicit-def: $vgpr23_vgpr24
                                        ; implicit-def: $vgpr52
.LBB2_208:                              ;   in Loop: Header=BB2_204 Depth=2
	s_or_saveexec_b64 s[20:21], s[20:21]
	v_mov_b32_e32 v26, -1
	v_mov_b32_e32 v25, v53
	v_mov_b32_e32 v55, v27
	s_xor_b64 exec, exec, s[20:21]
	s_cbranch_execz .LBB2_212
; %bb.209:                              ;   in Loop: Header=BB2_204 Depth=2
	v_lshl_add_u32 v25, v53, 3, v67
	ds_write_b64 v25, v[23:24]
	ds_read_b64 v[20:21], v54 offset:80
	s_mov_b64 s[24:25], s[18:19]
	s_waitcnt lgkmcnt(0)
	ds_write_b64 v25, v[20:21] offset:80
	ds_read_b64 v[20:21], v54 offset:160
	s_waitcnt lgkmcnt(0)
	ds_write_b64 v25, v[20:21] offset:160
	ds_read_b64 v[23:24], v52
                                        ; implicit-def: $vgpr21_vgpr22
                                        ; implicit-def: $vgpr20
	s_waitcnt lgkmcnt(0)
	v_cmp_le_f64_e32 vcc, 1.0, v[23:24]
	s_and_saveexec_b64 s[22:23], vcc
	s_cbranch_execz .LBB2_211
; %bb.210:                              ;   in Loop: Header=BB2_204 Depth=2
	ds_read_b64 v[20:21], v54
	v_mov_b32_e32 v52, v94
	v_add_u32_e32 v26, 0xffffffb0, v27
	s_waitcnt lgkmcnt(0)
	v_add_f64 v[22:23], v[23:24], -v[20:21]
	v_add_f64 v[20:21], -v[20:21], 1.0
	v_add_u32_e32 v24, -8, v25
	ds_write_b64 v24, v[51:52]
	v_div_scale_f64 v[55:56], s[24:25], v[22:23], v[22:23], v[20:21]
	s_or_b64 s[24:25], s[18:19], exec
	v_rcp_f64_e32 v[57:58], v[55:56]
	v_fma_f64 v[59:60], -v[55:56], v[57:58], 1.0
	v_fma_f64 v[57:58], v[57:58], v[59:60], v[57:58]
	v_div_scale_f64 v[59:60], vcc, v[20:21], v[22:23], v[20:21]
	v_fma_f64 v[61:62], -v[55:56], v[57:58], 1.0
	v_fma_f64 v[57:58], v[57:58], v[61:62], v[57:58]
	v_mul_f64 v[61:62], v[59:60], v[57:58]
	v_fma_f64 v[55:56], -v[55:56], v[61:62], v[59:60]
	v_div_fmas_f64 v[55:56], v[55:56], v[57:58], v[61:62]
	ds_read_b64 v[57:58], v54 offset:80
	ds_read_b64 v[59:60], v26
	s_waitcnt lgkmcnt(0)
	v_add_f64 v[59:60], v[59:60], -v[57:58]
	v_div_fixup_f64 v[21:22], v[55:56], v[22:23], v[20:21]
	v_mov_b32_e32 v20, v16
	v_fma_f64 v[23:24], v[21:22], v[59:60], v[57:58]
	ds_write_b64 v25, v[23:24] offset:72
.LBB2_211:                              ;   in Loop: Header=BB2_204 Depth=2
	s_or_b64 exec, exec, s[22:23]
	s_andn2_b64 s[18:19], s[18:19], exec
	s_and_b64 s[22:23], s[24:25], exec
	v_add_u32_e32 v55, 0xa0, v54
	v_add_u32_e32 v25, -1, v53
	v_mov_b32_e32 v26, -2
	s_or_b64 s[18:19], s[18:19], s[22:23]
.LBB2_212:                              ;   in Loop: Header=BB2_204 Depth=2
	s_or_b64 exec, exec, s[20:21]
	s_and_saveexec_b64 s[20:21], s[18:19]
	s_cbranch_execz .LBB2_203
; %bb.213:                              ;   in Loop: Header=BB2_204 Depth=2
	v_lshl_add_u32 v20, v20, 3, v67
	ds_read_b64 v[23:24], v55
	ds_read_b64 v[54:55], v20 offset:160
	s_waitcnt lgkmcnt(0)
	v_add_f64 v[54:55], v[54:55], -v[23:24]
	v_fma_f64 v[20:21], v[21:22], v[54:55], v[23:24]
	v_lshl_add_u32 v22, v25, 3, v67
	v_add_u32_e32 v25, v26, v53
	ds_write_b64 v22, v[20:21] offset:160
	s_branch .LBB2_203
.LBB2_214:                              ;   in Loop: Header=BB2_131 Depth=1
	s_or_b64 exec, exec, s[16:17]
	v_add_u32_e32 v16, 1, v25
	v_ashrrev_i32_e32 v17, 31, v16
.LBB2_215:                              ;   in Loop: Header=BB2_131 Depth=1
	s_or_b64 exec, exec, s[4:5]
	v_cmp_ne_u64_e32 vcc, 10, v[16:17]
	v_mov_b32_e32 v53, 0
	s_and_saveexec_b64 s[4:5], vcc
	s_cbranch_execz .LBB2_229
; %bb.216:                              ;   in Loop: Header=BB2_131 Depth=1
	v_add_co_u32_e32 v18, vcc, -10, v16
	v_lshl_add_u32 v26, v16, 3, v67
	v_addc_co_u32_e32 v19, vcc, -1, v17, vcc
	v_mov_b32_e32 v53, 0
	v_mov_b32_e32 v20, 9
	s_mov_b64 s[16:17], 0
	v_mov_b32_e32 v21, 0
	s_branch .LBB2_218
.LBB2_217:                              ;   in Loop: Header=BB2_218 Depth=2
	s_or_b64 exec, exec, s[20:21]
	v_add_co_u32_e32 v22, vcc, 1, v16
	v_addc_co_u32_e32 v23, vcc, 0, v17, vcc
	v_add_co_u32_e32 v18, vcc, 1, v18
	v_addc_co_u32_e32 v19, vcc, 0, v19, vcc
	v_cmp_eq_u64_e32 vcc, 0, v[18:19]
	v_mov_b32_e32 v21, v17
	v_mov_b32_e32 v20, v16
	;; [unrolled: 1-line block ×3, first 2 shown]
	v_add_u32_e32 v26, 8, v26
	s_or_b64 s[16:17], vcc, s[16:17]
	v_mov_b32_e32 v17, v23
	s_andn2_b64 exec, exec, s[16:17]
	s_cbranch_execz .LBB2_228
.LBB2_218:                              ;   Parent Loop BB2_131 Depth=1
                                        ; =>  This Inner Loop Header: Depth=2
	v_lshl_add_u32 v27, v20, 3, v67
	ds_read_b64 v[22:23], v27
	s_mov_b64 s[18:19], 0
                                        ; implicit-def: $vgpr20_vgpr21
	s_waitcnt lgkmcnt(0)
	v_cmp_le_f64_e32 vcc, 0, v[22:23]
	s_and_saveexec_b64 s[20:21], vcc
	s_xor_b64 s[20:21], exec, s[20:21]
	s_cbranch_execnz .LBB2_221
; %bb.219:                              ;   in Loop: Header=BB2_218 Depth=2
	s_andn2_saveexec_b64 s[20:21], s[20:21]
	s_cbranch_execnz .LBB2_224
.LBB2_220:                              ;   in Loop: Header=BB2_218 Depth=2
	s_or_b64 exec, exec, s[20:21]
	s_and_saveexec_b64 s[20:21], s[18:19]
	s_cbranch_execz .LBB2_217
	s_branch .LBB2_227
.LBB2_221:                              ;   in Loop: Header=BB2_218 Depth=2
	v_lshl_add_u32 v24, v53, 3, v67
	ds_write_b64 v24, v[22:23]
	ds_read_b64 v[20:21], v27 offset:80
	s_waitcnt lgkmcnt(0)
	ds_write_b64 v24, v[20:21] offset:80
	ds_read_b64 v[20:21], v27 offset:160
	s_waitcnt lgkmcnt(0)
	ds_write_b64 v24, v[20:21] offset:160
	ds_read_b64 v[22:23], v26
                                        ; implicit-def: $vgpr20_vgpr21
	s_waitcnt lgkmcnt(0)
	v_cmp_gt_f64_e32 vcc, 0, v[22:23]
	s_and_saveexec_b64 s[22:23], vcc
	s_cbranch_execz .LBB2_223
; %bb.222:                              ;   in Loop: Header=BB2_218 Depth=2
	ds_read_b64 v[20:21], v27
	v_add_f64 v[54:55], -v[22:23], 0
	v_mov_b32_e32 v52, v51
	ds_write_b64 v24, v[51:52] offset:8
	s_mov_b64 s[18:19], exec
	s_waitcnt lgkmcnt(1)
	v_add_f64 v[20:21], v[20:21], -v[22:23]
	v_div_scale_f64 v[22:23], s[24:25], v[20:21], v[20:21], v[54:55]
	v_rcp_f64_e32 v[56:57], v[22:23]
	v_fma_f64 v[58:59], -v[22:23], v[56:57], 1.0
	v_fma_f64 v[56:57], v[56:57], v[58:59], v[56:57]
	v_div_scale_f64 v[58:59], vcc, v[54:55], v[20:21], v[54:55]
	v_fma_f64 v[60:61], -v[22:23], v[56:57], 1.0
	v_fma_f64 v[56:57], v[56:57], v[60:61], v[56:57]
	v_mul_f64 v[60:61], v[58:59], v[56:57]
	v_fma_f64 v[22:23], -v[22:23], v[60:61], v[58:59]
	v_div_fmas_f64 v[22:23], v[22:23], v[56:57], v[60:61]
	ds_read_b64 v[56:57], v26 offset:80
	ds_read_b64 v[58:59], v27 offset:80
	s_waitcnt lgkmcnt(0)
	v_add_f64 v[58:59], v[58:59], -v[56:57]
	v_div_fixup_f64 v[20:21], v[22:23], v[20:21], v[54:55]
	v_fma_f64 v[22:23], v[20:21], v[58:59], v[56:57]
	ds_write_b64 v24, v[22:23] offset:88
	ds_read_b64 v[22:23], v26 offset:160
	ds_read_b64 v[24:25], v27 offset:160
	s_waitcnt lgkmcnt(0)
	v_add_f64 v[24:25], v[24:25], -v[22:23]
	v_fma_f64 v[20:21], v[20:21], v[24:25], v[22:23]
.LBB2_223:                              ;   in Loop: Header=BB2_218 Depth=2
	s_or_b64 exec, exec, s[22:23]
	v_add_u32_e32 v53, 1, v53
	s_and_b64 s[18:19], s[18:19], exec
                                        ; implicit-def: $vgpr22_vgpr23
                                        ; implicit-def: $vgpr27
	s_andn2_saveexec_b64 s[20:21], s[20:21]
	s_cbranch_execz .LBB2_220
.LBB2_224:                              ;   in Loop: Header=BB2_218 Depth=2
	ds_read_b64 v[24:25], v26
	s_mov_b64 s[24:25], s[18:19]
                                        ; implicit-def: $vgpr20_vgpr21
	s_waitcnt lgkmcnt(0)
	v_cmp_le_f64_e32 vcc, 0, v[24:25]
	s_and_saveexec_b64 s[22:23], vcc
	s_cbranch_execz .LBB2_226
; %bb.225:                              ;   in Loop: Header=BB2_218 Depth=2
	v_add_f64 v[20:21], v[24:25], -v[22:23]
	v_add_f64 v[22:23], -v[22:23], 0
	v_mov_b32_e32 v52, v51
	v_div_scale_f64 v[24:25], s[24:25], v[20:21], v[20:21], v[22:23]
	s_or_b64 s[24:25], s[18:19], exec
	v_rcp_f64_e32 v[54:55], v[24:25]
	v_fma_f64 v[56:57], -v[24:25], v[54:55], 1.0
	v_fma_f64 v[54:55], v[54:55], v[56:57], v[54:55]
	v_div_scale_f64 v[56:57], vcc, v[22:23], v[20:21], v[22:23]
	v_fma_f64 v[58:59], -v[24:25], v[54:55], 1.0
	v_fma_f64 v[54:55], v[54:55], v[58:59], v[54:55]
	v_mul_f64 v[58:59], v[56:57], v[54:55]
	v_fma_f64 v[24:25], -v[24:25], v[58:59], v[56:57]
	v_div_fmas_f64 v[24:25], v[24:25], v[54:55], v[58:59]
	v_lshl_add_u32 v58, v53, 3, v67
	ds_write_b64 v58, v[51:52]
	ds_read_b64 v[54:55], v27 offset:80
	ds_read_b64 v[56:57], v26 offset:80
	s_waitcnt lgkmcnt(0)
	v_add_f64 v[56:57], v[56:57], -v[54:55]
	v_div_fixup_f64 v[20:21], v[24:25], v[20:21], v[22:23]
	v_fma_f64 v[22:23], v[20:21], v[56:57], v[54:55]
	ds_write_b64 v58, v[22:23] offset:80
	ds_read_b64 v[22:23], v27 offset:160
	ds_read_b64 v[24:25], v26 offset:160
	s_waitcnt lgkmcnt(0)
	v_add_f64 v[24:25], v[24:25], -v[22:23]
	v_fma_f64 v[20:21], v[20:21], v[24:25], v[22:23]
.LBB2_226:                              ;   in Loop: Header=BB2_218 Depth=2
	s_or_b64 exec, exec, s[22:23]
	s_andn2_b64 s[18:19], s[18:19], exec
	s_and_b64 s[22:23], s[24:25], exec
	s_or_b64 s[18:19], s[18:19], s[22:23]
	s_or_b64 exec, exec, s[20:21]
	s_and_saveexec_b64 s[20:21], s[18:19]
	s_cbranch_execz .LBB2_217
.LBB2_227:                              ;   in Loop: Header=BB2_218 Depth=2
	v_lshl_add_u32 v22, v53, 3, v67
	v_add_u32_e32 v53, 1, v53
	ds_write_b64 v22, v[20:21] offset:160
	s_branch .LBB2_217
.LBB2_228:                              ;   in Loop: Header=BB2_131 Depth=1
	s_or_b64 exec, exec, s[16:17]
.LBB2_229:                              ;   in Loop: Header=BB2_131 Depth=1
	s_or_b64 exec, exec, s[4:5]
	v_ashrrev_i32_e32 v54, 31, v53
	v_cmp_lt_i32_e64 s[4:5], 0, v53
	s_and_saveexec_b64 s[16:17], s[4:5]
	s_cbranch_execz .LBB2_232
; %bb.230:                              ;   in Loop: Header=BB2_131 Depth=1
	v_mov_b32_e32 v16, v53
	s_mov_b32 s20, 16
	s_mov_b64 s[18:19], 0
	v_mov_b32_e32 v18, v67
	v_mov_b32_e32 v17, v54
.LBB2_231:                              ;   Parent Loop BB2_131 Depth=1
                                        ; =>  This Inner Loop Header: Depth=2
	ds_read2_b64 v[19:22], v18 offset1:10
	v_add_co_u32_e32 v16, vcc, -1, v16
	v_addc_co_u32_e32 v17, vcc, -1, v17, vcc
	v_cmp_eq_u64_e32 vcc, 0, v[16:17]
	v_mov_b32_e32 v25, s20
	s_add_i32 s20, s20, 8
	ds_read_b64 v[23:24], v18 offset:160
	v_add_u32_e32 v18, 8, v18
	s_or_b64 s[18:19], vcc, s[18:19]
	s_waitcnt lgkmcnt(1)
	buffer_store_dword v20, v25, s[0:3], 0 offen offset:4
	buffer_store_dword v19, v25, s[0:3], 0 offen
	buffer_store_dword v22, v25, s[0:3], 0 offen offset:68
	buffer_store_dword v21, v25, s[0:3], 0 offen offset:64
	s_waitcnt lgkmcnt(0)
	buffer_store_dword v24, v25, s[0:3], 0 offen offset:132
	buffer_store_dword v23, v25, s[0:3], 0 offen offset:128
	s_andn2_b64 exec, exec, s[18:19]
	s_cbranch_execnz .LBB2_231
.LBB2_232:                              ;   in Loop: Header=BB2_131 Depth=1
	s_or_b64 exec, exec, s[16:17]
	v_subrev_co_u32_e32 v55, vcc, 1, v53
	s_xor_b64 s[16:17], vcc, -1
	v_ashrrev_i32_e32 v56, 31, v55
	v_mov_b32_e32 v26, 9
	v_lshl_add_u32 v52, v53, 3, v88
	s_and_saveexec_b64 s[18:19], s[16:17]
	s_cbranch_execnz .LBB2_235
; %bb.233:                              ;   in Loop: Header=BB2_131 Depth=1
	s_or_b64 exec, exec, s[18:19]
	v_cmp_gt_i32_e32 vcc, 7, v26
	s_and_saveexec_b64 s[18:19], vcc
	s_cbranch_execnz .LBB2_248
.LBB2_234:                              ;   in Loop: Header=BB2_131 Depth=1
	s_or_b64 exec, exec, s[18:19]
	s_and_saveexec_b64 s[18:19], s[4:5]
	s_cbranch_execnz .LBB2_253
	s_branch .LBB2_255
.LBB2_235:                              ;   in Loop: Header=BB2_131 Depth=1
	v_add_co_u32_e32 v16, vcc, 1, v55
	v_mov_b32_e32 v18, v55
	v_lshl_add_u32 v27, v53, 3, v88
	v_addc_co_u32_e32 v17, vcc, 0, v56, vcc
	v_mov_b32_e32 v26, 9
	s_mov_b64 s[20:21], 0
	v_mov_b32_e32 v20, 0
	v_mov_b32_e32 v19, v56
	;; [unrolled: 1-line block ×3, first 2 shown]
	s_branch .LBB2_237
.LBB2_236:                              ;   in Loop: Header=BB2_237 Depth=2
	s_or_b64 exec, exec, s[24:25]
	v_add_co_u32_e32 v22, vcc, -1, v18
	v_addc_co_u32_e32 v23, vcc, -1, v19, vcc
	v_add_co_u32_e32 v16, vcc, -1, v16
	v_addc_co_u32_e32 v17, vcc, -1, v17, vcc
	v_cmp_eq_u64_e32 vcc, 0, v[16:17]
	v_mov_b32_e32 v21, v19
	v_mov_b32_e32 v20, v18
	;; [unrolled: 1-line block ×3, first 2 shown]
	v_add_u32_e32 v27, -8, v27
	s_or_b64 s[20:21], vcc, s[20:21]
	v_mov_b32_e32 v19, v23
	s_andn2_b64 exec, exec, s[20:21]
	s_cbranch_execz .LBB2_247
.LBB2_237:                              ;   Parent Loop BB2_131 Depth=1
                                        ; =>  This Inner Loop Header: Depth=2
	v_lshl_add_u32 v57, v20, 3, v67
	ds_read_b64 v[22:23], v57 offset:160
	s_mov_b64 s[22:23], 0
                                        ; implicit-def: $vgpr20_vgpr21
	s_waitcnt lgkmcnt(0)
	v_cmp_ge_f64_e32 vcc, v[22:23], v[34:35]
	s_and_saveexec_b64 s[24:25], vcc
	s_xor_b64 s[24:25], exec, s[24:25]
	s_cbranch_execnz .LBB2_240
; %bb.238:                              ;   in Loop: Header=BB2_237 Depth=2
	s_andn2_saveexec_b64 s[24:25], s[24:25]
	s_cbranch_execnz .LBB2_243
.LBB2_239:                              ;   in Loop: Header=BB2_237 Depth=2
	s_or_b64 exec, exec, s[24:25]
	s_and_saveexec_b64 s[24:25], s[22:23]
	s_cbranch_execz .LBB2_236
	s_branch .LBB2_246
.LBB2_240:                              ;   in Loop: Header=BB2_237 Depth=2
	v_lshl_add_u32 v24, v26, 3, v67
	ds_write_b64 v24, v[22:23] offset:160
	ds_read_b64 v[20:21], v57
	s_waitcnt lgkmcnt(0)
	ds_write_b64 v24, v[20:21]
	ds_read_b64 v[20:21], v57 offset:80
	s_waitcnt lgkmcnt(0)
	ds_write_b64 v24, v[20:21] offset:80
	ds_read_b64 v[22:23], v27 offset:160
                                        ; implicit-def: $vgpr20_vgpr21
	s_waitcnt lgkmcnt(0)
	v_cmp_lt_f64_e32 vcc, v[22:23], v[34:35]
	s_and_saveexec_b64 s[26:27], vcc
	s_cbranch_execz .LBB2_242
; %bb.241:                              ;   in Loop: Header=BB2_237 Depth=2
	ds_read_b64 v[20:21], v57 offset:160
	v_add_f64 v[58:59], v[34:35], -v[22:23]
	ds_write_b64 v24, v[34:35] offset:152
	v_add_u32_e32 v24, -8, v24
	s_mov_b64 s[22:23], exec
	s_waitcnt lgkmcnt(1)
	v_add_f64 v[20:21], v[20:21], -v[22:23]
	v_div_scale_f64 v[22:23], s[28:29], v[20:21], v[20:21], v[58:59]
	v_rcp_f64_e32 v[60:61], v[22:23]
	v_fma_f64 v[62:63], -v[22:23], v[60:61], 1.0
	v_fma_f64 v[60:61], v[60:61], v[62:63], v[60:61]
	v_div_scale_f64 v[62:63], vcc, v[58:59], v[20:21], v[58:59]
	v_fma_f64 v[64:65], -v[22:23], v[60:61], 1.0
	v_fma_f64 v[60:61], v[60:61], v[64:65], v[60:61]
	v_mul_f64 v[64:65], v[62:63], v[60:61]
	v_fma_f64 v[22:23], -v[22:23], v[64:65], v[62:63]
	v_div_fmas_f64 v[22:23], v[22:23], v[60:61], v[64:65]
	ds_read_b64 v[60:61], v27
	ds_read_b64 v[62:63], v57
	s_waitcnt lgkmcnt(0)
	v_add_f64 v[62:63], v[62:63], -v[60:61]
	v_div_fixup_f64 v[20:21], v[22:23], v[20:21], v[58:59]
	v_fma_f64 v[22:23], v[20:21], v[62:63], v[60:61]
	ds_write_b64 v24, v[22:23]
	ds_read_b64 v[22:23], v27 offset:80
	ds_read_b64 v[24:25], v57 offset:80
	s_waitcnt lgkmcnt(0)
	v_add_f64 v[24:25], v[24:25], -v[22:23]
	v_fma_f64 v[20:21], v[20:21], v[24:25], v[22:23]
.LBB2_242:                              ;   in Loop: Header=BB2_237 Depth=2
	s_or_b64 exec, exec, s[26:27]
	v_add_u32_e32 v26, -1, v26
	s_and_b64 s[22:23], s[22:23], exec
                                        ; implicit-def: $vgpr22_vgpr23
                                        ; implicit-def: $vgpr57
	s_andn2_saveexec_b64 s[24:25], s[24:25]
	s_cbranch_execz .LBB2_239
.LBB2_243:                              ;   in Loop: Header=BB2_237 Depth=2
	ds_read_b64 v[24:25], v27 offset:160
	s_mov_b64 s[28:29], s[22:23]
                                        ; implicit-def: $vgpr20_vgpr21
	s_waitcnt lgkmcnt(0)
	v_cmp_ge_f64_e32 vcc, v[24:25], v[34:35]
	s_and_saveexec_b64 s[26:27], vcc
	s_cbranch_execz .LBB2_245
; %bb.244:                              ;   in Loop: Header=BB2_237 Depth=2
	v_add_f64 v[20:21], v[24:25], -v[22:23]
	v_add_f64 v[22:23], v[34:35], -v[22:23]
	v_div_scale_f64 v[24:25], s[28:29], v[20:21], v[20:21], v[22:23]
	s_or_b64 s[28:29], s[22:23], exec
	v_rcp_f64_e32 v[58:59], v[24:25]
	v_fma_f64 v[60:61], -v[24:25], v[58:59], 1.0
	v_fma_f64 v[58:59], v[58:59], v[60:61], v[58:59]
	v_div_scale_f64 v[60:61], vcc, v[22:23], v[20:21], v[22:23]
	v_fma_f64 v[62:63], -v[24:25], v[58:59], 1.0
	v_fma_f64 v[58:59], v[58:59], v[62:63], v[58:59]
	v_mul_f64 v[62:63], v[60:61], v[58:59]
	v_fma_f64 v[24:25], -v[24:25], v[62:63], v[60:61]
	v_div_fmas_f64 v[24:25], v[24:25], v[58:59], v[62:63]
	v_lshl_add_u32 v62, v26, 3, v67
	ds_write_b64 v62, v[34:35] offset:160
	ds_read_b64 v[58:59], v57
	ds_read_b64 v[60:61], v27
	s_waitcnt lgkmcnt(0)
	v_add_f64 v[60:61], v[60:61], -v[58:59]
	v_div_fixup_f64 v[20:21], v[24:25], v[20:21], v[22:23]
	v_fma_f64 v[22:23], v[20:21], v[60:61], v[58:59]
	ds_write_b64 v62, v[22:23]
	ds_read_b64 v[22:23], v57 offset:80
	ds_read_b64 v[24:25], v27 offset:80
	s_waitcnt lgkmcnt(0)
	v_add_f64 v[24:25], v[24:25], -v[22:23]
	v_fma_f64 v[20:21], v[20:21], v[24:25], v[22:23]
.LBB2_245:                              ;   in Loop: Header=BB2_237 Depth=2
	s_or_b64 exec, exec, s[26:27]
	s_andn2_b64 s[22:23], s[22:23], exec
	s_and_b64 s[26:27], s[28:29], exec
	s_or_b64 s[22:23], s[22:23], s[26:27]
	s_or_b64 exec, exec, s[24:25]
	s_and_saveexec_b64 s[24:25], s[22:23]
	s_cbranch_execz .LBB2_236
.LBB2_246:                              ;   in Loop: Header=BB2_237 Depth=2
	v_lshl_add_u32 v22, v26, 3, v67
	v_add_u32_e32 v26, -1, v26
	ds_write_b64 v22, v[20:21] offset:80
	s_branch .LBB2_236
.LBB2_247:                              ;   in Loop: Header=BB2_131 Depth=1
	s_or_b64 exec, exec, s[20:21]
	s_or_b64 exec, exec, s[18:19]
	v_cmp_gt_i32_e32 vcc, 7, v26
	s_and_saveexec_b64 s[18:19], vcc
	s_cbranch_execz .LBB2_234
.LBB2_248:                              ;   in Loop: Header=BB2_131 Depth=1
	v_sub_u32_e32 v57, 9, v26
	v_mov_b32_e32 v58, v51
	v_lshlrev_b32_e32 v59, 3, v26
	v_mov_b32_e32 v16, v57
	v_add_u32_e32 v18, v89, v59
	s_mov_b64 s[20:21], 0
	v_mov_b32_e32 v17, v58
.LBB2_249:                              ;   Parent Loop BB2_131 Depth=1
                                        ; =>  This Inner Loop Header: Depth=2
	v_add_co_u32_e32 v16, vcc, -1, v16
	v_addc_co_u32_e32 v17, vcc, -1, v17, vcc
	v_cmp_eq_u64_e32 vcc, 0, v[16:17]
	ds_write_b64 v18, v[34:35]
	s_or_b64 s[20:21], vcc, s[20:21]
	v_add_u32_e32 v18, 8, v18
	s_andn2_b64 exec, exec, s[20:21]
	s_cbranch_execnz .LBB2_249
; %bb.250:                              ;   in Loop: Header=BB2_131 Depth=1
	s_or_b64 exec, exec, s[20:21]
	v_lshl_add_u32 v24, v26, 3, v67
	ds_read2_b64 v[16:19], v24 offset0:1 offset1:2
	ds_read2_b64 v[20:23], v24 offset0:11 offset1:12
	;; [unrolled: 1-line block ×3, first 2 shown]
	v_add_co_u32_e32 v57, vcc, -2, v57
	v_addc_co_u32_e64 v58, s[20:21], 0, -1, vcc
	v_add_u32_e32 v95, v90, v59
	v_mov_b32_e32 v59, 0
	v_mov_b32_e32 v61, 0
	;; [unrolled: 1-line block ×8, first 2 shown]
	s_mov_b64 s[20:21], 0
.LBB2_251:                              ;   Parent Loop BB2_131 Depth=1
                                        ; =>  This Inner Loop Header: Depth=2
	ds_read2_b64 v[96:99], v95 offset1:10
	ds_read_b64 v[100:101], v95 offset:160
	s_waitcnt lgkmcnt(2)
	v_add_f64 v[102:103], v[24:25], v[26:27]
	v_add_f64 v[104:105], v[16:17], v[18:19]
	;; [unrolled: 1-line block ×3, first 2 shown]
	v_add_f64 v[108:109], v[16:17], -v[18:19]
	s_waitcnt lgkmcnt(1)
	v_add_f64 v[110:111], v[18:19], v[96:97]
	v_add_f64 v[22:23], v[22:23], v[98:99]
	v_add_f64 v[18:19], v[18:19], -v[96:97]
	s_waitcnt lgkmcnt(0)
	v_add_f64 v[26:27], v[26:27], v[100:101]
	v_mul_f64 v[120:121], v[102:103], 0.5
	v_add_f64 v[112:113], v[24:25], v[100:101]
	v_add_f64 v[116:117], v[20:21], v[98:99]
	v_add_f64 v[118:119], v[96:97], -v[16:17]
	v_fma_f64 v[102:103], v[102:103], 0.5, 0
	v_fma_f64 v[104:105], v[36:37], v[104:105], v[0:1]
	v_mul_f64 v[18:19], v[18:19], v[22:23]
	v_fma_f64 v[122:123], v[38:39], v[106:107], v[4:5]
	v_mul_f64 v[124:125], v[26:27], 0.5
	v_fma_f64 v[130:131], v[120:121], 0.5, v[6:7]
	v_add_f64 v[114:115], v[16:17], v[96:97]
	v_fma_f64 v[110:111], v[36:37], v[110:111], v[0:1]
	v_fma_f64 v[22:23], v[38:39], v[22:23], v[4:5]
	v_mul_f64 v[126:127], v[112:113], 0.5
	v_fma_f64 v[18:19], v[108:109], v[106:107], v[18:19]
	v_fma_f64 v[104:105], v[104:105], v[120:121], 0
	;; [unrolled: 1-line block ×3, first 2 shown]
	v_fma_f64 v[26:27], v[26:27], 0.5, v[102:103]
	v_fma_f64 v[102:103], v[124:125], 0.5, v[6:7]
	v_fma_f64 v[108:109], v[120:121], v[130:131], 0
	v_fma_f64 v[114:115], v[36:37], v[114:115], v[0:1]
	v_fma_f64 v[128:129], v[38:39], v[116:117], v[4:5]
	v_fma_f64 v[18:19], v[118:119], v[116:117], v[18:19]
	v_fma_f64 v[116:117], v[126:127], 0.5, v[6:7]
	v_fma_f64 v[104:105], v[110:111], v[124:125], v[104:105]
	v_fma_f64 v[22:23], v[124:125], v[22:23], v[106:107]
	v_fma_f64 v[26:27], v[112:113], 0.5, v[26:27]
	v_fma_f64 v[102:103], v[124:125], v[102:103], v[108:109]
	v_add_co_u32_e32 v57, vcc, -1, v57
	v_mul_f64 v[18:19], v[18:19], 0.5
	v_addc_co_u32_e32 v58, vcc, -1, v58, vcc
	v_fma_f64 v[104:105], v[114:115], v[126:127], v[104:105]
	v_fma_f64 v[22:23], v[126:127], v[128:129], v[22:23]
	;; [unrolled: 1-line block ×3, first 2 shown]
	v_cmp_eq_u64_e32 vcc, 0, v[57:58]
	v_add_u32_e32 v95, 8, v95
	v_mul_f64 v[18:19], v[18:19], s[12:13]
	s_or_b64 s[20:21], vcc, s[20:21]
	v_fma_f64 v[59:60], v[26:27], v[18:19], v[59:60]
	v_fma_f64 v[61:62], v[18:19], v[104:105], v[61:62]
	;; [unrolled: 1-line block ×4, first 2 shown]
	v_mov_b32_e32 v18, v96
	v_mov_b32_e32 v22, v98
	;; [unrolled: 1-line block ×6, first 2 shown]
	s_andn2_b64 exec, exec, s[20:21]
	s_cbranch_execnz .LBB2_251
; %bb.252:                              ;   in Loop: Header=BB2_131 Depth=1
	s_or_b64 exec, exec, s[20:21]
	v_fma_f64 v[8:9], v[2:3], v[59:60], v[8:9]
	v_fma_f64 v[10:11], v[2:3], v[61:62], v[10:11]
	;; [unrolled: 1-line block ×4, first 2 shown]
	s_or_b64 exec, exec, s[18:19]
	s_and_saveexec_b64 s[18:19], s[4:5]
	s_cbranch_execz .LBB2_255
.LBB2_253:                              ;   in Loop: Header=BB2_131 Depth=1
	s_mov_b32 s20, 16
	s_mov_b64 s[4:5], 0
	v_mov_b32_e32 v16, v67
.LBB2_254:                              ;   Parent Loop BB2_131 Depth=1
                                        ; =>  This Inner Loop Header: Depth=2
	v_mov_b32_e32 v23, s20
	buffer_load_dword v17, v23, s[0:3], 0 offen
	buffer_load_dword v18, v23, s[0:3], 0 offen offset:4
	buffer_load_dword v20, v23, s[0:3], 0 offen offset:68
	;; [unrolled: 1-line block ×5, first 2 shown]
	v_add_co_u32_e32 v53, vcc, -1, v53
	v_addc_co_u32_e32 v54, vcc, -1, v54, vcc
	v_cmp_eq_u64_e32 vcc, 0, v[53:54]
	s_add_i32 s20, s20, 8
	s_or_b64 s[4:5], vcc, s[4:5]
	s_waitcnt vmcnt(1)
	ds_write2_b64 v16, v[17:18], v[19:20] offset1:10
	s_waitcnt vmcnt(0)
	ds_write_b64 v16, v[21:22] offset:160
	v_add_u32_e32 v16, 8, v16
	s_andn2_b64 exec, exec, s[4:5]
	s_cbranch_execnz .LBB2_254
.LBB2_255:                              ;   in Loop: Header=BB2_131 Depth=1
	s_or_b64 exec, exec, s[18:19]
	v_mov_b32_e32 v16, 10
	v_mov_b32_e32 v17, 0
	s_and_saveexec_b64 s[4:5], s[16:17]
	s_cbranch_execz .LBB2_269
; %bb.256:                              ;   in Loop: Header=BB2_131 Depth=1
	v_add_co_u32_e32 v16, vcc, 1, v55
	v_addc_co_u32_e32 v17, vcc, 0, v56, vcc
	v_mov_b32_e32 v25, 9
	v_mov_b32_e32 v18, 0
	s_mov_b64 s[16:17], 0
	v_mov_b32_e32 v19, 0
	s_branch .LBB2_258
.LBB2_257:                              ;   in Loop: Header=BB2_258 Depth=2
	s_or_b64 exec, exec, s[20:21]
	v_add_co_u32_e32 v20, vcc, -1, v55
	v_addc_co_u32_e32 v21, vcc, -1, v56, vcc
	v_add_co_u32_e32 v16, vcc, -1, v16
	v_addc_co_u32_e32 v17, vcc, -1, v17, vcc
	v_cmp_eq_u64_e32 vcc, 0, v[16:17]
	v_mov_b32_e32 v18, v55
	v_mov_b32_e32 v19, v56
	;; [unrolled: 1-line block ×3, first 2 shown]
	v_add_u32_e32 v52, -8, v52
	s_or_b64 s[16:17], vcc, s[16:17]
	v_mov_b32_e32 v25, v23
	v_mov_b32_e32 v55, v20
	s_andn2_b64 exec, exec, s[16:17]
	s_cbranch_execz .LBB2_268
.LBB2_258:                              ;   Parent Loop BB2_131 Depth=1
                                        ; =>  This Inner Loop Header: Depth=2
	v_lshl_add_u32 v26, v18, 3, v67
	ds_read_b64 v[21:22], v26 offset:160
	s_mov_b64 s[18:19], 0
                                        ; implicit-def: $vgpr19_vgpr20
                                        ; implicit-def: $vgpr27
	s_waitcnt lgkmcnt(0)
	v_cmp_nlt_f64_e32 vcc, v[21:22], v[34:35]
	s_and_saveexec_b64 s[20:21], vcc
	s_xor_b64 s[20:21], exec, s[20:21]
	s_cbranch_execz .LBB2_262
; %bb.259:                              ;   in Loop: Header=BB2_258 Depth=2
	ds_read_b64 v[23:24], v52 offset:160
                                        ; implicit-def: $vgpr19_vgpr20
                                        ; implicit-def: $vgpr27
	s_waitcnt lgkmcnt(0)
	v_cmp_lt_f64_e32 vcc, v[23:24], v[34:35]
	s_and_saveexec_b64 s[22:23], vcc
	s_xor_b64 s[22:23], exec, s[22:23]
	s_cbranch_execz .LBB2_261
; %bb.260:                              ;   in Loop: Header=BB2_258 Depth=2
	v_add_f64 v[19:20], v[21:22], -v[23:24]
	v_add_f64 v[21:22], v[34:35], -v[23:24]
	s_mov_b64 s[18:19], exec
	v_div_scale_f64 v[23:24], s[24:25], v[19:20], v[19:20], v[21:22]
	v_rcp_f64_e32 v[53:54], v[23:24]
	v_fma_f64 v[57:58], -v[23:24], v[53:54], 1.0
	v_fma_f64 v[53:54], v[53:54], v[57:58], v[53:54]
	v_div_scale_f64 v[57:58], vcc, v[21:22], v[19:20], v[21:22]
	v_fma_f64 v[59:60], -v[23:24], v[53:54], 1.0
	v_fma_f64 v[53:54], v[53:54], v[59:60], v[53:54]
	v_mul_f64 v[59:60], v[57:58], v[53:54]
	v_fma_f64 v[23:24], -v[23:24], v[59:60], v[57:58]
	v_lshl_add_u32 v57, v25, 3, v67
	ds_write_b64 v57, v[34:35] offset:160
	v_div_fmas_f64 v[23:24], v[23:24], v[53:54], v[59:60]
	ds_read_b64 v[53:54], v52
	ds_read_b64 v[26:27], v26
	s_waitcnt lgkmcnt(0)
	v_add_f64 v[26:27], v[26:27], -v[53:54]
	v_div_fixup_f64 v[19:20], v[23:24], v[19:20], v[21:22]
	v_fma_f64 v[21:22], v[19:20], v[26:27], v[53:54]
	v_add_u32_e32 v27, 0x50, v52
	ds_write_b64 v57, v[21:22]
.LBB2_261:                              ;   in Loop: Header=BB2_258 Depth=2
	s_or_b64 exec, exec, s[22:23]
	s_and_b64 s[18:19], s[18:19], exec
                                        ; implicit-def: $vgpr26
                                        ; implicit-def: $vgpr21_vgpr22
.LBB2_262:                              ;   in Loop: Header=BB2_258 Depth=2
	s_or_saveexec_b64 s[20:21], s[20:21]
	v_mov_b32_e32 v24, -1
	v_mov_b32_e32 v23, v25
	s_xor_b64 exec, exec, s[20:21]
	s_cbranch_execz .LBB2_266
; %bb.263:                              ;   in Loop: Header=BB2_258 Depth=2
	v_lshl_add_u32 v23, v25, 3, v67
	ds_write_b64 v23, v[21:22] offset:160
	ds_read_b64 v[18:19], v26
	s_mov_b64 s[24:25], s[18:19]
	s_waitcnt lgkmcnt(0)
	ds_write_b64 v23, v[18:19]
	ds_read_b64 v[18:19], v26 offset:80
	s_waitcnt lgkmcnt(0)
	ds_write_b64 v23, v[18:19] offset:80
	ds_read_b64 v[21:22], v52 offset:160
                                        ; implicit-def: $vgpr19_vgpr20
                                        ; implicit-def: $vgpr18
	s_waitcnt lgkmcnt(0)
	v_cmp_ge_f64_e32 vcc, v[21:22], v[34:35]
	s_and_saveexec_b64 s[22:23], vcc
	s_cbranch_execz .LBB2_265
; %bb.264:                              ;   in Loop: Header=BB2_258 Depth=2
	ds_read_b64 v[18:19], v26 offset:160
	ds_write_b64 v23, v[34:35] offset:152
	s_waitcnt lgkmcnt(1)
	v_add_f64 v[20:21], v[21:22], -v[18:19]
	v_add_f64 v[18:19], v[34:35], -v[18:19]
	v_div_scale_f64 v[53:54], s[24:25], v[20:21], v[20:21], v[18:19]
	s_or_b64 s[24:25], s[18:19], exec
	v_rcp_f64_e32 v[57:58], v[53:54]
	v_fma_f64 v[59:60], -v[53:54], v[57:58], 1.0
	v_fma_f64 v[57:58], v[57:58], v[59:60], v[57:58]
	v_div_scale_f64 v[59:60], vcc, v[18:19], v[20:21], v[18:19]
	v_fma_f64 v[61:62], -v[53:54], v[57:58], 1.0
	v_fma_f64 v[57:58], v[57:58], v[61:62], v[57:58]
	v_mul_f64 v[61:62], v[59:60], v[57:58]
	v_fma_f64 v[53:54], -v[53:54], v[61:62], v[59:60]
	v_div_fmas_f64 v[53:54], v[53:54], v[57:58], v[61:62]
	ds_read_b64 v[57:58], v26
	ds_read_b64 v[59:60], v52
	s_waitcnt lgkmcnt(0)
	v_add_f64 v[59:60], v[59:60], -v[57:58]
	v_div_fixup_f64 v[19:20], v[53:54], v[20:21], v[18:19]
	v_add_u32_e32 v18, -8, v23
	v_fma_f64 v[21:22], v[19:20], v[59:60], v[57:58]
	ds_write_b64 v18, v[21:22]
	v_mov_b32_e32 v18, v55
.LBB2_265:                              ;   in Loop: Header=BB2_258 Depth=2
	s_or_b64 exec, exec, s[22:23]
	s_andn2_b64 s[18:19], s[18:19], exec
	s_and_b64 s[22:23], s[24:25], exec
	v_add_u32_e32 v27, 0x50, v26
	v_add_u32_e32 v23, -1, v25
	v_mov_b32_e32 v24, -2
	s_or_b64 s[18:19], s[18:19], s[22:23]
.LBB2_266:                              ;   in Loop: Header=BB2_258 Depth=2
	s_or_b64 exec, exec, s[20:21]
	s_and_saveexec_b64 s[20:21], s[18:19]
	s_cbranch_execz .LBB2_257
; %bb.267:                              ;   in Loop: Header=BB2_258 Depth=2
	v_lshl_add_u32 v18, v18, 3, v67
	ds_read_b64 v[21:22], v27
	ds_read_b64 v[26:27], v18 offset:80
	s_waitcnt lgkmcnt(0)
	v_add_f64 v[26:27], v[26:27], -v[21:22]
	v_fma_f64 v[18:19], v[19:20], v[26:27], v[21:22]
	v_lshl_add_u32 v20, v23, 3, v67
	v_add_u32_e32 v23, v24, v25
	ds_write_b64 v20, v[18:19] offset:80
	s_branch .LBB2_257
.LBB2_268:                              ;   in Loop: Header=BB2_131 Depth=1
	s_or_b64 exec, exec, s[16:17]
	v_add_u32_e32 v16, 1, v23
	v_ashrrev_i32_e32 v17, 31, v16
.LBB2_269:                              ;   in Loop: Header=BB2_131 Depth=1
	s_or_b64 exec, exec, s[4:5]
	v_cmp_ne_u64_e32 vcc, 10, v[16:17]
	v_mov_b32_e32 v53, 0
	s_and_saveexec_b64 s[4:5], vcc
	s_cbranch_execz .LBB2_283
; %bb.270:                              ;   in Loop: Header=BB2_131 Depth=1
	v_add_co_u32_e32 v18, vcc, -10, v16
	v_lshl_add_u32 v26, v16, 3, v67
	v_addc_co_u32_e32 v19, vcc, -1, v17, vcc
	v_mov_b32_e32 v53, 0
	v_mov_b32_e32 v20, 9
	s_mov_b64 s[16:17], 0
	v_mov_b32_e32 v21, 0
	s_branch .LBB2_272
.LBB2_271:                              ;   in Loop: Header=BB2_272 Depth=2
	s_or_b64 exec, exec, s[20:21]
	v_add_co_u32_e32 v22, vcc, 1, v16
	v_addc_co_u32_e32 v23, vcc, 0, v17, vcc
	v_add_co_u32_e32 v18, vcc, 1, v18
	v_addc_co_u32_e32 v19, vcc, 0, v19, vcc
	v_cmp_eq_u64_e32 vcc, 0, v[18:19]
	v_mov_b32_e32 v21, v17
	v_mov_b32_e32 v20, v16
	;; [unrolled: 1-line block ×3, first 2 shown]
	v_add_u32_e32 v26, 8, v26
	s_or_b64 s[16:17], vcc, s[16:17]
	v_mov_b32_e32 v17, v23
	s_andn2_b64 exec, exec, s[16:17]
	s_cbranch_execz .LBB2_282
.LBB2_272:                              ;   Parent Loop BB2_131 Depth=1
                                        ; =>  This Inner Loop Header: Depth=2
	v_lshl_add_u32 v27, v20, 3, v67
	ds_read_b64 v[22:23], v27 offset:160
	s_mov_b64 s[18:19], 0
                                        ; implicit-def: $vgpr20_vgpr21
	s_waitcnt lgkmcnt(0)
	v_cmp_le_f64_e32 vcc, 0, v[22:23]
	s_and_saveexec_b64 s[20:21], vcc
	s_xor_b64 s[20:21], exec, s[20:21]
	s_cbranch_execnz .LBB2_275
; %bb.273:                              ;   in Loop: Header=BB2_272 Depth=2
	s_andn2_saveexec_b64 s[20:21], s[20:21]
	s_cbranch_execnz .LBB2_278
.LBB2_274:                              ;   in Loop: Header=BB2_272 Depth=2
	s_or_b64 exec, exec, s[20:21]
	s_and_saveexec_b64 s[20:21], s[18:19]
	s_cbranch_execz .LBB2_271
	s_branch .LBB2_281
.LBB2_275:                              ;   in Loop: Header=BB2_272 Depth=2
	v_lshl_add_u32 v24, v53, 3, v67
	ds_write_b64 v24, v[22:23] offset:160
	ds_read_b64 v[20:21], v27
	s_waitcnt lgkmcnt(0)
	ds_write_b64 v24, v[20:21]
	ds_read_b64 v[20:21], v27 offset:80
	s_waitcnt lgkmcnt(0)
	ds_write_b64 v24, v[20:21] offset:80
	ds_read_b64 v[22:23], v26 offset:160
                                        ; implicit-def: $vgpr20_vgpr21
	s_waitcnt lgkmcnt(0)
	v_cmp_gt_f64_e32 vcc, 0, v[22:23]
	s_and_saveexec_b64 s[22:23], vcc
	s_cbranch_execz .LBB2_277
; %bb.276:                              ;   in Loop: Header=BB2_272 Depth=2
	ds_read_b64 v[20:21], v27 offset:160
	v_add_f64 v[54:55], -v[22:23], 0
	v_mov_b32_e32 v52, v51
	ds_write_b64 v24, v[51:52] offset:168
	s_mov_b64 s[18:19], exec
	s_waitcnt lgkmcnt(1)
	v_add_f64 v[20:21], v[20:21], -v[22:23]
	v_div_scale_f64 v[22:23], s[24:25], v[20:21], v[20:21], v[54:55]
	v_rcp_f64_e32 v[56:57], v[22:23]
	v_fma_f64 v[58:59], -v[22:23], v[56:57], 1.0
	v_fma_f64 v[56:57], v[56:57], v[58:59], v[56:57]
	v_div_scale_f64 v[58:59], vcc, v[54:55], v[20:21], v[54:55]
	v_fma_f64 v[60:61], -v[22:23], v[56:57], 1.0
	v_fma_f64 v[56:57], v[56:57], v[60:61], v[56:57]
	v_mul_f64 v[60:61], v[58:59], v[56:57]
	v_fma_f64 v[22:23], -v[22:23], v[60:61], v[58:59]
	v_div_fmas_f64 v[22:23], v[22:23], v[56:57], v[60:61]
	ds_read_b64 v[56:57], v26
	ds_read_b64 v[58:59], v27
	s_waitcnt lgkmcnt(0)
	v_add_f64 v[58:59], v[58:59], -v[56:57]
	v_div_fixup_f64 v[20:21], v[22:23], v[20:21], v[54:55]
	v_fma_f64 v[22:23], v[20:21], v[58:59], v[56:57]
	ds_write_b64 v24, v[22:23] offset:8
	ds_read_b64 v[22:23], v26 offset:80
	ds_read_b64 v[24:25], v27 offset:80
	s_waitcnt lgkmcnt(0)
	v_add_f64 v[24:25], v[24:25], -v[22:23]
	v_fma_f64 v[20:21], v[20:21], v[24:25], v[22:23]
.LBB2_277:                              ;   in Loop: Header=BB2_272 Depth=2
	s_or_b64 exec, exec, s[22:23]
	v_add_u32_e32 v53, 1, v53
	s_and_b64 s[18:19], s[18:19], exec
                                        ; implicit-def: $vgpr22_vgpr23
                                        ; implicit-def: $vgpr27
	s_andn2_saveexec_b64 s[20:21], s[20:21]
	s_cbranch_execz .LBB2_274
.LBB2_278:                              ;   in Loop: Header=BB2_272 Depth=2
	ds_read_b64 v[24:25], v26 offset:160
	s_mov_b64 s[24:25], s[18:19]
                                        ; implicit-def: $vgpr20_vgpr21
	s_waitcnt lgkmcnt(0)
	v_cmp_le_f64_e32 vcc, 0, v[24:25]
	s_and_saveexec_b64 s[22:23], vcc
	s_cbranch_execz .LBB2_280
; %bb.279:                              ;   in Loop: Header=BB2_272 Depth=2
	v_add_f64 v[20:21], v[24:25], -v[22:23]
	v_add_f64 v[22:23], -v[22:23], 0
	v_mov_b32_e32 v52, v51
	v_div_scale_f64 v[24:25], s[24:25], v[20:21], v[20:21], v[22:23]
	s_or_b64 s[24:25], s[18:19], exec
	v_rcp_f64_e32 v[54:55], v[24:25]
	v_fma_f64 v[56:57], -v[24:25], v[54:55], 1.0
	v_fma_f64 v[54:55], v[54:55], v[56:57], v[54:55]
	v_div_scale_f64 v[56:57], vcc, v[22:23], v[20:21], v[22:23]
	v_fma_f64 v[58:59], -v[24:25], v[54:55], 1.0
	v_fma_f64 v[54:55], v[54:55], v[58:59], v[54:55]
	v_mul_f64 v[58:59], v[56:57], v[54:55]
	v_fma_f64 v[24:25], -v[24:25], v[58:59], v[56:57]
	v_div_fmas_f64 v[24:25], v[24:25], v[54:55], v[58:59]
	v_lshl_add_u32 v58, v53, 3, v67
	ds_write_b64 v58, v[51:52] offset:160
	ds_read_b64 v[54:55], v27
	ds_read_b64 v[56:57], v26
	s_waitcnt lgkmcnt(0)
	v_add_f64 v[56:57], v[56:57], -v[54:55]
	v_div_fixup_f64 v[20:21], v[24:25], v[20:21], v[22:23]
	v_fma_f64 v[22:23], v[20:21], v[56:57], v[54:55]
	ds_write_b64 v58, v[22:23]
	ds_read_b64 v[22:23], v27 offset:80
	ds_read_b64 v[24:25], v26 offset:80
	s_waitcnt lgkmcnt(0)
	v_add_f64 v[24:25], v[24:25], -v[22:23]
	v_fma_f64 v[20:21], v[20:21], v[24:25], v[22:23]
.LBB2_280:                              ;   in Loop: Header=BB2_272 Depth=2
	s_or_b64 exec, exec, s[22:23]
	s_andn2_b64 s[18:19], s[18:19], exec
	s_and_b64 s[22:23], s[24:25], exec
	s_or_b64 s[18:19], s[18:19], s[22:23]
	s_or_b64 exec, exec, s[20:21]
	s_and_saveexec_b64 s[20:21], s[18:19]
	s_cbranch_execz .LBB2_271
.LBB2_281:                              ;   in Loop: Header=BB2_272 Depth=2
	v_lshl_add_u32 v22, v53, 3, v67
	v_add_u32_e32 v53, 1, v53
	ds_write_b64 v22, v[20:21] offset:80
	s_branch .LBB2_271
.LBB2_282:                              ;   in Loop: Header=BB2_131 Depth=1
	s_or_b64 exec, exec, s[16:17]
.LBB2_283:                              ;   in Loop: Header=BB2_131 Depth=1
	s_or_b64 exec, exec, s[4:5]
	v_cmp_lt_i32_e32 vcc, 2, v53
	s_and_saveexec_b64 s[4:5], vcc
	s_cbranch_execz .LBB2_130
; %bb.284:                              ;   in Loop: Header=BB2_131 Depth=1
	ds_read2_b64 v[16:19], v67 offset1:1
	ds_read2_b64 v[20:23], v67 offset0:10 offset1:11
	ds_read2_b64 v[24:27], v67 offset0:20 offset1:21
	v_add_co_u32_e32 v52, vcc, -2, v53
	v_addc_co_u32_e64 v53, s[16:17], 0, -1, vcc
	v_mov_b32_e32 v54, 0
	v_mov_b32_e32 v56, 0
	v_mov_b32_e32 v58, 0
	v_mov_b32_e32 v60, 0
	v_mov_b32_e32 v55, 0
	s_mov_b64 s[16:17], 0
	v_mov_b32_e32 v57, 0
	v_mov_b32_e32 v59, 0
	v_mov_b32_e32 v61, 0
	v_mov_b32_e32 v62, v91
.LBB2_285:                              ;   Parent Loop BB2_131 Depth=1
                                        ; =>  This Inner Loop Header: Depth=2
	ds_read2_b64 v[63:66], v62 offset1:10
	ds_read_b64 v[95:96], v62 offset:160
	s_waitcnt lgkmcnt(2)
	v_add_f64 v[97:98], v[24:25], v[26:27]
	v_add_f64 v[99:100], v[16:17], v[18:19]
	;; [unrolled: 1-line block ×3, first 2 shown]
	v_add_f64 v[103:104], v[16:17], -v[18:19]
	s_waitcnt lgkmcnt(1)
	v_add_f64 v[105:106], v[18:19], v[63:64]
	v_add_f64 v[22:23], v[22:23], v[65:66]
	v_add_f64 v[18:19], v[18:19], -v[63:64]
	s_waitcnt lgkmcnt(0)
	v_add_f64 v[26:27], v[26:27], v[95:96]
	v_mul_f64 v[115:116], v[97:98], 0.5
	v_add_f64 v[107:108], v[24:25], v[95:96]
	v_add_f64 v[111:112], v[20:21], v[65:66]
	v_add_f64 v[113:114], v[63:64], -v[16:17]
	v_fma_f64 v[97:98], v[97:98], 0.5, 0
	v_fma_f64 v[99:100], v[36:37], v[99:100], v[0:1]
	v_mul_f64 v[18:19], v[18:19], v[22:23]
	v_fma_f64 v[117:118], v[38:39], v[101:102], v[4:5]
	v_mul_f64 v[119:120], v[26:27], 0.5
	v_fma_f64 v[125:126], v[115:116], 0.5, v[6:7]
	v_add_f64 v[109:110], v[16:17], v[63:64]
	v_fma_f64 v[105:106], v[36:37], v[105:106], v[0:1]
	v_fma_f64 v[22:23], v[38:39], v[22:23], v[4:5]
	v_mul_f64 v[121:122], v[107:108], 0.5
	v_fma_f64 v[18:19], v[103:104], v[101:102], v[18:19]
	v_fma_f64 v[99:100], v[99:100], v[115:116], 0
	;; [unrolled: 1-line block ×3, first 2 shown]
	v_fma_f64 v[26:27], v[26:27], 0.5, v[97:98]
	v_fma_f64 v[97:98], v[119:120], 0.5, v[6:7]
	v_fma_f64 v[103:104], v[115:116], v[125:126], 0
	v_fma_f64 v[109:110], v[36:37], v[109:110], v[0:1]
	;; [unrolled: 1-line block ×4, first 2 shown]
	v_fma_f64 v[111:112], v[121:122], 0.5, v[6:7]
	v_fma_f64 v[99:100], v[105:106], v[119:120], v[99:100]
	v_fma_f64 v[22:23], v[119:120], v[22:23], v[101:102]
	v_fma_f64 v[26:27], v[107:108], 0.5, v[26:27]
	v_fma_f64 v[97:98], v[119:120], v[97:98], v[103:104]
	v_add_co_u32_e32 v52, vcc, -1, v52
	v_mul_f64 v[18:19], v[18:19], 0.5
	v_addc_co_u32_e32 v53, vcc, -1, v53, vcc
	v_fma_f64 v[99:100], v[109:110], v[121:122], v[99:100]
	v_fma_f64 v[22:23], v[121:122], v[123:124], v[22:23]
	;; [unrolled: 1-line block ×3, first 2 shown]
	v_cmp_eq_u64_e32 vcc, 0, v[52:53]
	v_add_u32_e32 v62, 8, v62
	v_mul_f64 v[18:19], v[18:19], s[12:13]
	s_or_b64 s[16:17], vcc, s[16:17]
	v_fma_f64 v[54:55], v[26:27], v[18:19], v[54:55]
	v_fma_f64 v[56:57], v[18:19], v[99:100], v[56:57]
	;; [unrolled: 1-line block ×4, first 2 shown]
	v_mov_b32_e32 v18, v63
	v_mov_b32_e32 v22, v65
	v_mov_b32_e32 v26, v95
	v_mov_b32_e32 v19, v64
	v_mov_b32_e32 v23, v66
	v_mov_b32_e32 v27, v96
	s_andn2_b64 exec, exec, s[16:17]
	s_cbranch_execnz .LBB2_285
; %bb.286:                              ;   in Loop: Header=BB2_131 Depth=1
	s_or_b64 exec, exec, s[16:17]
	v_fma_f64 v[8:9], v[2:3], v[54:55], v[8:9]
	v_fma_f64 v[10:11], v[2:3], v[56:57], v[10:11]
	;; [unrolled: 1-line block ×4, first 2 shown]
	s_branch .LBB2_130
.LBB2_287:
	s_or_b64 exec, exec, s[8:9]
.LBB2_288:
	s_or_b64 exec, exec, s[6:7]
	buffer_load_dword v16, off, s[0:3], 0 offset:4
	s_mov_b32 s4, 0xc0c0004
	v_lshlrev_b16_e32 v17, 8, v82
	v_lshlrev_b16_e32 v18, 8, v81
	v_or_b32_sdwa v17, v40, v17 dst_sel:DWORD dst_unused:UNUSED_PAD src0_sel:BYTE_0 src1_sel:DWORD
	v_or_b32_sdwa v18, v42, v18 dst_sel:DWORD dst_unused:UNUSED_PAD src0_sel:BYTE_0 src1_sel:DWORD
	v_perm_b32 v42, v45, v79, s4
	v_perm_b32 v45, v77, v48, s4
	v_lshlrev_b16_e32 v19, 8, v80
	v_perm_b32 v24, v41, v74, s4
	v_perm_b32 v26, v71, v46, s4
	;; [unrolled: 1-line block ×4, first 2 shown]
	v_and_b32_e32 v47, 0xffff, v17
	v_lshlrev_b32_e32 v45, 16, v45
	v_lshrrev_b32_e32 v53, 8, v26
	v_lshl_or_b32 v26, v26, 16, v47
	v_or_b32_e32 v44, v44, v45
	v_or_b32_e32 v19, v19, v45
	v_lshrrev_b32_e32 v45, 8, v47
	v_perm_b32 v25, v69, v68, s4
	v_perm_b32 v27, v43, v78, s4
	;; [unrolled: 1-line block ×4, first 2 shown]
	v_lshl_or_b32 v46, v25, 16, v24
	v_lshrrev_b32_e32 v52, 8, v24
	v_and_b32_e32 v23, 0xff, v69
	v_lshrrev_b32_e32 v25, 8, v25
	v_and_b32_e32 v22, 0xff, v71
	v_and_b32_e32 v21, 0xff, v72
	v_lshl_or_b32 v48, v40, 16, v27
	v_lshrrev_b32_e32 v40, 8, v40
	v_lshrrev_b32_e32 v51, 8, v27
	v_and_b32_e32 v49, 0xffff, v18
	v_and_b32_e32 v20, 0xff, v75
	v_lshlrev_b32_e32 v50, 16, v43
	v_or_b32_e32 v50, v42, v50
	v_lshl_or_b32 v54, v41, 16, v49
	s_waitcnt vmcnt(0)
	v_and_b32_e32 v47, 1, v16
	v_cmp_ne_u32_e64 s[4:5], 20, v47
	v_cmp_eq_u32_e32 vcc, 0, v47
	v_cndmask_b32_e64 v24, 1, v24, s[4:5]
	v_cmp_ne_u32_e64 s[4:5], 21, v47
	v_cndmask_b32_e32 v19, v19, v44, vcc
	v_cndmask_b32_e64 v44, 1, v52, s[4:5]
	v_cmp_ne_u32_e64 s[4:5], 22, v47
	v_cndmask_b32_e64 v23, 1, v23, s[4:5]
	v_cmp_ne_u32_e64 s[4:5], 23, v47
	v_cndmask_b32_e64 v25, 1, v25, s[4:5]
	v_cmp_ne_u32_e64 s[4:5], 16, v47
	v_cndmask_b32_e64 v17, 1, v17, s[4:5]
	v_cmp_ne_u32_e64 s[4:5], 17, v47
	v_cndmask_b32_e64 v45, 1, v45, s[4:5]
	v_cmp_ne_u32_e64 s[4:5], 18, v47
	v_cndmask_b32_e64 v22, 1, v22, s[4:5]
	v_cmp_ne_u32_e64 s[4:5], 19, v47
	v_cndmask_b32_e64 v52, 1, v53, s[4:5]
	v_cndmask_b32_e64 v53, v19, 1, vcc
	v_lshrrev_b32_e32 v56, 8, v19
	v_cmp_eq_u32_e32 vcc, 1, v47
	v_lshrrev_b32_e32 v57, 24, v19
	v_cndmask_b32_e64 v56, v56, 1, vcc
	v_cmp_ne_u32_e32 vcc, 3, v47
	v_lshrrev_b32_e32 v58, 16, v19
	v_cndmask_b32_e32 v57, 1, v57, vcc
	v_cmp_ne_u32_e32 vcc, 2, v47
	v_cmp_ne_u32_e64 s[4:5], 12, v47
	v_lshlrev_b16_e32 v44, 8, v44
	v_lshlrev_b16_e32 v25, 8, v25
	;; [unrolled: 1-line block ×4, first 2 shown]
	v_cndmask_b32_e32 v58, 1, v58, vcc
	v_cmp_ne_u32_e32 vcc, 14, v47
	v_cndmask_b32_e64 v27, 1, v27, s[4:5]
	v_cmp_ne_u32_e64 s[4:5], 13, v47
	v_or_b32_sdwa v24, v24, v44 dst_sel:DWORD dst_unused:UNUSED_PAD src0_sel:BYTE_0 src1_sel:DWORD
	v_or_b32_sdwa v23, v23, v25 dst_sel:WORD_1 dst_unused:UNUSED_PAD src0_sel:DWORD src1_sel:DWORD
	v_or_b32_sdwa v17, v17, v45 dst_sel:DWORD dst_unused:UNUSED_PAD src0_sel:BYTE_0 src1_sel:DWORD
	v_or_b32_sdwa v22, v22, v52 dst_sel:WORD_1 dst_unused:UNUSED_PAD src0_sel:DWORD src1_sel:DWORD
	v_lshlrev_b16_e32 v25, 8, v56
	v_lshlrev_b16_e32 v44, 8, v57
	v_cndmask_b32_e32 v21, 1, v21, vcc
	v_cmp_ne_u32_e32 vcc, 15, v47
	v_cndmask_b32_e64 v51, 1, v51, s[4:5]
	v_or_b32_sdwa v23, v24, v23 dst_sel:DWORD dst_unused:UNUSED_PAD src0_sel:WORD_0 src1_sel:DWORD
	v_or_b32_sdwa v17, v17, v22 dst_sel:DWORD dst_unused:UNUSED_PAD src0_sel:WORD_0 src1_sel:DWORD
	v_or_b32_sdwa v22, v53, v25 dst_sel:DWORD dst_unused:UNUSED_PAD src0_sel:BYTE_0 src1_sel:DWORD
	v_or_b32_sdwa v24, v58, v44 dst_sel:WORD_1 dst_unused:UNUSED_PAD src0_sel:BYTE_0 src1_sel:DWORD
	v_cndmask_b32_e32 v25, 1, v40, vcc
	v_or_b32_sdwa v22, v22, v24 dst_sel:DWORD dst_unused:UNUSED_PAD src0_sel:WORD_0 src1_sel:DWORD
	v_lshlrev_b16_e32 v24, 8, v51
	v_lshlrev_b16_e32 v25, 8, v25
	v_or_b32_sdwa v24, v27, v24 dst_sel:DWORD dst_unused:UNUSED_PAD src0_sel:BYTE_0 src1_sel:DWORD
	v_or_b32_sdwa v21, v21, v25 dst_sel:WORD_1 dst_unused:UNUSED_PAD src0_sel:DWORD src1_sel:DWORD
	v_cmp_ne_u32_e32 vcc, 8, v47
	v_or_b32_sdwa v21, v24, v21 dst_sel:DWORD dst_unused:UNUSED_PAD src0_sel:WORD_0 src1_sel:DWORD
	v_cndmask_b32_e32 v18, 1, v18, vcc
	v_lshrrev_b32_e32 v24, 8, v49
	v_cmp_ne_u32_e32 vcc, 9, v47
	v_cndmask_b32_e32 v24, 1, v24, vcc
	v_lshlrev_b16_e32 v24, 8, v24
	v_cmp_ne_u32_e32 vcc, 10, v47
	v_or_b32_sdwa v18, v18, v24 dst_sel:DWORD dst_unused:UNUSED_PAD src0_sel:BYTE_0 src1_sel:DWORD
	v_cndmask_b32_e32 v20, 1, v20, vcc
	v_lshrrev_b32_e32 v24, 8, v41
	v_cmp_ne_u32_e32 vcc, 11, v47
	v_cndmask_b32_e32 v24, 1, v24, vcc
	v_lshlrev_b16_e32 v24, 8, v24
	v_or_b32_sdwa v20, v20, v24 dst_sel:WORD_1 dst_unused:UNUSED_PAD src0_sel:DWORD src1_sel:DWORD
	v_or_b32_sdwa v18, v18, v20 dst_sel:DWORD dst_unused:UNUSED_PAD src0_sel:WORD_0 src1_sel:DWORD
	v_lshrrev_b32_e32 v20, 8, v50
	v_cmp_ne_u32_e32 vcc, 5, v47
	v_cndmask_b32_e32 v20, 1, v20, vcc
	v_cmp_ne_u32_e32 vcc, 4, v47
	v_lshlrev_b16_e32 v20, 8, v20
	v_cndmask_b32_e32 v24, 1, v42, vcc
	v_cmp_ne_u32_e32 vcc, 6, v47
	v_or_b32_sdwa v20, v24, v20 dst_sel:DWORD dst_unused:UNUSED_PAD src0_sel:BYTE_0 src1_sel:DWORD
	v_cndmask_b32_e32 v24, 1, v43, vcc
	v_bfe_u32 v25, v43, 8, 8
	v_cmp_ne_u32_e32 vcc, 7, v47
	v_and_b32_e32 v55, 2, v16
	v_cndmask_b32_e32 v25, 1, v25, vcc
	v_lshlrev_b16_e32 v25, 8, v25
	v_cmp_eq_u32_e32 vcc, 0, v55
	v_or_b32_sdwa v24, v24, v25 dst_sel:WORD_1 dst_unused:UNUSED_PAD src0_sel:BYTE_0 src1_sel:DWORD
	v_cndmask_b32_e32 v19, v22, v19, vcc
	v_cndmask_b32_e32 v22, v23, v46, vcc
	v_bfe_u32 v23, v16, 1, 1
	v_or_b32_sdwa v20, v20, v24 dst_sel:DWORD dst_unused:UNUSED_PAD src0_sel:WORD_0 src1_sel:DWORD
	v_add_u32_e32 v23, v23, v47
	v_cndmask_b32_e32 v20, v20, v50, vcc
	v_cndmask_b32_e32 v18, v18, v54, vcc
	;; [unrolled: 1-line block ×4, first 2 shown]
	v_cmp_ne_u32_e32 vcc, 0, v23
	v_cndmask_b32_e32 v25, 2, v19, vcc
	v_lshrrev_b32_e32 v26, 8, v19
	v_cmp_ne_u32_e32 vcc, 1, v23
	v_cndmask_b32_e32 v26, 2, v26, vcc
	v_lshlrev_b16_e32 v26, 8, v26
	v_or_b32_sdwa v25, v25, v26 dst_sel:DWORD dst_unused:UNUSED_PAD src0_sel:BYTE_0 src1_sel:DWORD
	v_lshrrev_b32_e32 v26, 24, v19
	v_cmp_ne_u32_e32 vcc, 3, v23
	v_cndmask_b32_e32 v26, 2, v26, vcc
	v_lshrrev_b32_e32 v27, 16, v19
	v_cmp_ne_u32_e32 vcc, 2, v23
	v_lshlrev_b16_e32 v26, 8, v26
	v_cndmask_b32_e32 v27, 2, v27, vcc
	v_or_b32_sdwa v26, v27, v26 dst_sel:WORD_1 dst_unused:UNUSED_PAD src0_sel:BYTE_0 src1_sel:DWORD
	v_cmp_ne_u32_e32 vcc, 20, v23
	v_or_b32_sdwa v25, v25, v26 dst_sel:DWORD dst_unused:UNUSED_PAD src0_sel:WORD_0 src1_sel:DWORD
	v_cndmask_b32_e32 v26, 2, v22, vcc
	v_lshrrev_b32_e32 v27, 8, v22
	v_cmp_ne_u32_e32 vcc, 21, v23
	v_cndmask_b32_e32 v27, 2, v27, vcc
	v_lshlrev_b16_e32 v27, 8, v27
	v_or_b32_sdwa v26, v26, v27 dst_sel:DWORD dst_unused:UNUSED_PAD src0_sel:BYTE_0 src1_sel:DWORD
	v_lshrrev_b32_e32 v27, 24, v22
	v_cmp_ne_u32_e32 vcc, 23, v23
	v_cndmask_b32_e32 v27, 2, v27, vcc
	v_lshrrev_b32_e32 v40, 16, v22
	v_cmp_ne_u32_e32 vcc, 22, v23
	v_lshlrev_b16_e32 v27, 8, v27
	v_cndmask_b32_e32 v40, 2, v40, vcc
	v_or_b32_sdwa v27, v40, v27 dst_sel:WORD_1 dst_unused:UNUSED_PAD src0_sel:BYTE_0 src1_sel:DWORD
	v_cmp_ne_u32_e32 vcc, 16, v23
	v_or_b32_sdwa v26, v26, v27 dst_sel:DWORD dst_unused:UNUSED_PAD src0_sel:WORD_0 src1_sel:DWORD
	v_cndmask_b32_e32 v27, 2, v17, vcc
	v_lshrrev_b32_e32 v40, 8, v17
	v_cmp_ne_u32_e32 vcc, 17, v23
	v_cndmask_b32_e32 v40, 2, v40, vcc
	v_lshlrev_b16_e32 v40, 8, v40
	v_or_b32_sdwa v27, v27, v40 dst_sel:DWORD dst_unused:UNUSED_PAD src0_sel:BYTE_0 src1_sel:DWORD
	v_lshrrev_b32_e32 v40, 24, v17
	v_cmp_ne_u32_e32 vcc, 19, v23
	v_cndmask_b32_e32 v40, 2, v40, vcc
	v_lshrrev_b32_e32 v41, 16, v17
	v_cmp_ne_u32_e32 vcc, 18, v23
	v_lshlrev_b16_e32 v40, 8, v40
	v_cndmask_b32_e32 v41, 2, v41, vcc
	v_or_b32_sdwa v40, v41, v40 dst_sel:WORD_1 dst_unused:UNUSED_PAD src0_sel:BYTE_0 src1_sel:DWORD
	v_cmp_ne_u32_e32 vcc, 12, v23
	v_or_b32_sdwa v27, v27, v40 dst_sel:DWORD dst_unused:UNUSED_PAD src0_sel:WORD_0 src1_sel:DWORD
	v_cndmask_b32_e32 v40, 2, v21, vcc
	v_lshrrev_b32_e32 v41, 8, v21
	v_cmp_ne_u32_e32 vcc, 13, v23
	v_cndmask_b32_e32 v41, 2, v41, vcc
	v_lshlrev_b16_e32 v41, 8, v41
	v_or_b32_sdwa v40, v40, v41 dst_sel:DWORD dst_unused:UNUSED_PAD src0_sel:BYTE_0 src1_sel:DWORD
	v_lshrrev_b32_e32 v41, 24, v21
	v_cmp_ne_u32_e32 vcc, 15, v23
	v_cndmask_b32_e32 v41, 2, v41, vcc
	v_lshrrev_b32_e32 v42, 16, v21
	v_cmp_ne_u32_e32 vcc, 14, v23
	v_lshlrev_b16_e32 v41, 8, v41
	v_cndmask_b32_e32 v42, 2, v42, vcc
	v_or_b32_sdwa v41, v42, v41 dst_sel:WORD_1 dst_unused:UNUSED_PAD src0_sel:BYTE_0 src1_sel:DWORD
	v_cmp_ne_u32_e32 vcc, 8, v23
	v_or_b32_sdwa v40, v40, v41 dst_sel:DWORD dst_unused:UNUSED_PAD src0_sel:WORD_0 src1_sel:DWORD
	v_cndmask_b32_e32 v41, 2, v18, vcc
	v_lshrrev_b32_e32 v42, 8, v18
	v_cmp_ne_u32_e32 vcc, 9, v23
	v_cndmask_b32_e32 v42, 2, v42, vcc
	v_lshlrev_b16_e32 v42, 8, v42
	v_or_b32_sdwa v41, v41, v42 dst_sel:DWORD dst_unused:UNUSED_PAD src0_sel:BYTE_0 src1_sel:DWORD
	v_lshrrev_b32_e32 v42, 24, v18
	v_cmp_ne_u32_e32 vcc, 11, v23
	v_cndmask_b32_e32 v42, 2, v42, vcc
	v_lshrrev_b32_e32 v43, 16, v18
	v_cmp_ne_u32_e32 vcc, 10, v23
	v_lshlrev_b16_e32 v42, 8, v42
	v_cndmask_b32_e32 v43, 2, v43, vcc
	v_or_b32_sdwa v42, v43, v42 dst_sel:WORD_1 dst_unused:UNUSED_PAD src0_sel:BYTE_0 src1_sel:DWORD
	v_cmp_ne_u32_e32 vcc, 4, v23
	v_or_b32_sdwa v41, v41, v42 dst_sel:DWORD dst_unused:UNUSED_PAD src0_sel:WORD_0 src1_sel:DWORD
	v_cndmask_b32_e32 v42, 2, v20, vcc
	v_lshrrev_b32_e32 v43, 8, v20
	v_cmp_ne_u32_e32 vcc, 5, v23
	v_cndmask_b32_e32 v43, 2, v43, vcc
	v_lshlrev_b16_e32 v43, 8, v43
	v_or_b32_sdwa v42, v42, v43 dst_sel:DWORD dst_unused:UNUSED_PAD src0_sel:BYTE_0 src1_sel:DWORD
	v_lshrrev_b32_e32 v43, 24, v20
	v_cmp_ne_u32_e32 vcc, 7, v23
	v_cndmask_b32_e32 v43, 2, v43, vcc
	v_lshrrev_b32_e32 v44, 16, v20
	v_cmp_ne_u32_e32 vcc, 6, v23
	v_and_b32_e32 v24, 4, v16
	v_lshlrev_b16_e32 v43, 8, v43
	v_cndmask_b32_e32 v44, 2, v44, vcc
	v_or_b32_sdwa v43, v44, v43 dst_sel:WORD_1 dst_unused:UNUSED_PAD src0_sel:BYTE_0 src1_sel:DWORD
	v_cmp_eq_u32_e32 vcc, 0, v24
	v_bfe_u32 v24, v16, 2, 1
	v_or_b32_sdwa v42, v42, v43 dst_sel:DWORD dst_unused:UNUSED_PAD src0_sel:WORD_0 src1_sel:DWORD
	v_add_u32_e32 v23, v23, v24
	v_cndmask_b32_e32 v19, v25, v19, vcc
	v_cndmask_b32_e32 v20, v42, v20, vcc
	;; [unrolled: 1-line block ×6, first 2 shown]
	v_cmp_ne_u32_e32 vcc, 0, v23
	v_cndmask_b32_e32 v25, 3, v19, vcc
	v_lshrrev_b32_e32 v26, 8, v19
	v_cmp_ne_u32_e32 vcc, 1, v23
	v_cndmask_b32_e32 v26, 3, v26, vcc
	v_lshlrev_b16_e32 v26, 8, v26
	v_or_b32_sdwa v25, v25, v26 dst_sel:DWORD dst_unused:UNUSED_PAD src0_sel:BYTE_0 src1_sel:DWORD
	v_lshrrev_b32_e32 v26, 24, v19
	v_cmp_ne_u32_e32 vcc, 3, v23
	v_cndmask_b32_e32 v26, 3, v26, vcc
	v_lshrrev_b32_e32 v27, 16, v19
	v_cmp_ne_u32_e32 vcc, 2, v23
	v_lshlrev_b16_e32 v26, 8, v26
	v_cndmask_b32_e32 v27, 3, v27, vcc
	v_or_b32_sdwa v26, v27, v26 dst_sel:WORD_1 dst_unused:UNUSED_PAD src0_sel:BYTE_0 src1_sel:DWORD
	v_cmp_ne_u32_e32 vcc, 20, v23
	v_or_b32_sdwa v25, v25, v26 dst_sel:DWORD dst_unused:UNUSED_PAD src0_sel:WORD_0 src1_sel:DWORD
	v_cndmask_b32_e32 v26, 3, v22, vcc
	v_lshrrev_b32_e32 v27, 8, v22
	v_cmp_ne_u32_e32 vcc, 21, v23
	v_cndmask_b32_e32 v27, 3, v27, vcc
	v_lshlrev_b16_e32 v27, 8, v27
	v_or_b32_sdwa v26, v26, v27 dst_sel:DWORD dst_unused:UNUSED_PAD src0_sel:BYTE_0 src1_sel:DWORD
	v_lshrrev_b32_e32 v27, 24, v22
	v_cmp_ne_u32_e32 vcc, 23, v23
	v_cndmask_b32_e32 v27, 3, v27, vcc
	v_lshrrev_b32_e32 v40, 16, v22
	v_cmp_ne_u32_e32 vcc, 22, v23
	v_lshlrev_b16_e32 v27, 8, v27
	v_cndmask_b32_e32 v40, 3, v40, vcc
	v_or_b32_sdwa v27, v40, v27 dst_sel:WORD_1 dst_unused:UNUSED_PAD src0_sel:BYTE_0 src1_sel:DWORD
	v_cmp_ne_u32_e32 vcc, 16, v23
	v_or_b32_sdwa v26, v26, v27 dst_sel:DWORD dst_unused:UNUSED_PAD src0_sel:WORD_0 src1_sel:DWORD
	;; [unrolled: 16-line block ×5, first 2 shown]
	v_cndmask_b32_e32 v42, 3, v20, vcc
	v_lshrrev_b32_e32 v43, 8, v20
	v_cmp_ne_u32_e32 vcc, 5, v23
	v_cndmask_b32_e32 v43, 3, v43, vcc
	v_lshlrev_b16_e32 v43, 8, v43
	v_or_b32_sdwa v42, v42, v43 dst_sel:DWORD dst_unused:UNUSED_PAD src0_sel:BYTE_0 src1_sel:DWORD
	v_lshrrev_b32_e32 v43, 24, v20
	v_cmp_ne_u32_e32 vcc, 7, v23
	v_cndmask_b32_e32 v43, 3, v43, vcc
	v_lshrrev_b32_e32 v44, 16, v20
	v_cmp_ne_u32_e32 vcc, 6, v23
	v_and_b32_e32 v24, 8, v16
	v_lshlrev_b16_e32 v43, 8, v43
	v_cndmask_b32_e32 v44, 3, v44, vcc
	v_or_b32_sdwa v43, v44, v43 dst_sel:WORD_1 dst_unused:UNUSED_PAD src0_sel:BYTE_0 src1_sel:DWORD
	v_cmp_eq_u32_e32 vcc, 0, v24
	v_bfe_u32 v24, v16, 3, 1
	v_or_b32_sdwa v42, v42, v43 dst_sel:DWORD dst_unused:UNUSED_PAD src0_sel:WORD_0 src1_sel:DWORD
	v_add_u32_e32 v23, v23, v24
	v_cndmask_b32_e32 v19, v25, v19, vcc
	v_cndmask_b32_e32 v20, v42, v20, vcc
	v_cndmask_b32_e32 v18, v41, v18, vcc
	v_cndmask_b32_e32 v21, v40, v21, vcc
	v_cndmask_b32_e32 v17, v27, v17, vcc
	v_cndmask_b32_e32 v22, v26, v22, vcc
	v_cmp_ne_u32_e32 vcc, 0, v23
	v_cndmask_b32_e32 v25, 4, v19, vcc
	v_lshrrev_b32_e32 v26, 8, v19
	v_cmp_ne_u32_e32 vcc, 1, v23
	v_cndmask_b32_e32 v26, 4, v26, vcc
	v_lshlrev_b16_e32 v26, 8, v26
	v_or_b32_sdwa v25, v25, v26 dst_sel:DWORD dst_unused:UNUSED_PAD src0_sel:BYTE_0 src1_sel:DWORD
	v_lshrrev_b32_e32 v26, 24, v19
	v_cmp_ne_u32_e32 vcc, 3, v23
	v_cndmask_b32_e32 v26, 4, v26, vcc
	v_lshrrev_b32_e32 v27, 16, v19
	v_cmp_ne_u32_e32 vcc, 2, v23
	v_lshlrev_b16_e32 v26, 8, v26
	v_cndmask_b32_e32 v27, 4, v27, vcc
	v_or_b32_sdwa v26, v27, v26 dst_sel:WORD_1 dst_unused:UNUSED_PAD src0_sel:BYTE_0 src1_sel:DWORD
	v_cmp_ne_u32_e32 vcc, 20, v23
	v_or_b32_sdwa v25, v25, v26 dst_sel:DWORD dst_unused:UNUSED_PAD src0_sel:WORD_0 src1_sel:DWORD
	v_cndmask_b32_e32 v26, 4, v22, vcc
	v_lshrrev_b32_e32 v27, 8, v22
	v_cmp_ne_u32_e32 vcc, 21, v23
	v_cndmask_b32_e32 v27, 4, v27, vcc
	v_lshlrev_b16_e32 v27, 8, v27
	v_or_b32_sdwa v26, v26, v27 dst_sel:DWORD dst_unused:UNUSED_PAD src0_sel:BYTE_0 src1_sel:DWORD
	v_lshrrev_b32_e32 v27, 24, v22
	v_cmp_ne_u32_e32 vcc, 23, v23
	v_cndmask_b32_e32 v27, 4, v27, vcc
	v_lshrrev_b32_e32 v40, 16, v22
	v_cmp_ne_u32_e32 vcc, 22, v23
	v_lshlrev_b16_e32 v27, 8, v27
	v_cndmask_b32_e32 v40, 4, v40, vcc
	v_or_b32_sdwa v27, v40, v27 dst_sel:WORD_1 dst_unused:UNUSED_PAD src0_sel:BYTE_0 src1_sel:DWORD
	v_cmp_ne_u32_e32 vcc, 16, v23
	v_or_b32_sdwa v26, v26, v27 dst_sel:DWORD dst_unused:UNUSED_PAD src0_sel:WORD_0 src1_sel:DWORD
	;; [unrolled: 16-line block ×5, first 2 shown]
	v_cndmask_b32_e32 v42, 4, v20, vcc
	v_lshrrev_b32_e32 v43, 8, v20
	v_cmp_ne_u32_e32 vcc, 5, v23
	v_cndmask_b32_e32 v43, 4, v43, vcc
	v_lshlrev_b16_e32 v43, 8, v43
	v_or_b32_sdwa v42, v42, v43 dst_sel:DWORD dst_unused:UNUSED_PAD src0_sel:BYTE_0 src1_sel:DWORD
	v_lshrrev_b32_e32 v43, 24, v20
	v_cmp_ne_u32_e32 vcc, 7, v23
	v_cndmask_b32_e32 v43, 4, v43, vcc
	v_lshrrev_b32_e32 v44, 16, v20
	v_cmp_ne_u32_e32 vcc, 6, v23
	v_and_b32_e32 v24, 16, v16
	v_lshlrev_b16_e32 v43, 8, v43
	v_cndmask_b32_e32 v44, 4, v44, vcc
	v_or_b32_sdwa v43, v44, v43 dst_sel:WORD_1 dst_unused:UNUSED_PAD src0_sel:BYTE_0 src1_sel:DWORD
	v_cmp_eq_u32_e32 vcc, 0, v24
	v_bfe_u32 v24, v16, 4, 1
	v_or_b32_sdwa v42, v42, v43 dst_sel:DWORD dst_unused:UNUSED_PAD src0_sel:WORD_0 src1_sel:DWORD
	v_add_u32_e32 v23, v23, v24
	v_cndmask_b32_e32 v19, v25, v19, vcc
	v_cndmask_b32_e32 v20, v42, v20, vcc
	;; [unrolled: 1-line block ×6, first 2 shown]
	v_cmp_ne_u32_e32 vcc, 0, v23
	v_cndmask_b32_e32 v25, 5, v19, vcc
	v_lshrrev_b32_e32 v26, 8, v19
	v_cmp_ne_u32_e32 vcc, 1, v23
	v_cndmask_b32_e32 v26, 5, v26, vcc
	v_lshlrev_b16_e32 v26, 8, v26
	v_or_b32_sdwa v25, v25, v26 dst_sel:DWORD dst_unused:UNUSED_PAD src0_sel:BYTE_0 src1_sel:DWORD
	v_lshrrev_b32_e32 v26, 24, v19
	v_cmp_ne_u32_e32 vcc, 3, v23
	v_cndmask_b32_e32 v26, 5, v26, vcc
	v_lshrrev_b32_e32 v27, 16, v19
	v_cmp_ne_u32_e32 vcc, 2, v23
	v_lshlrev_b16_e32 v26, 8, v26
	v_cndmask_b32_e32 v27, 5, v27, vcc
	v_or_b32_sdwa v26, v27, v26 dst_sel:WORD_1 dst_unused:UNUSED_PAD src0_sel:BYTE_0 src1_sel:DWORD
	v_cmp_ne_u32_e32 vcc, 20, v23
	v_or_b32_sdwa v25, v25, v26 dst_sel:DWORD dst_unused:UNUSED_PAD src0_sel:WORD_0 src1_sel:DWORD
	v_cndmask_b32_e32 v26, 5, v22, vcc
	v_lshrrev_b32_e32 v27, 8, v22
	v_cmp_ne_u32_e32 vcc, 21, v23
	v_cndmask_b32_e32 v27, 5, v27, vcc
	v_lshlrev_b16_e32 v27, 8, v27
	v_or_b32_sdwa v26, v26, v27 dst_sel:DWORD dst_unused:UNUSED_PAD src0_sel:BYTE_0 src1_sel:DWORD
	v_lshrrev_b32_e32 v27, 24, v22
	v_cmp_ne_u32_e32 vcc, 23, v23
	v_cndmask_b32_e32 v27, 5, v27, vcc
	v_lshrrev_b32_e32 v40, 16, v22
	v_cmp_ne_u32_e32 vcc, 22, v23
	v_lshlrev_b16_e32 v27, 8, v27
	v_cndmask_b32_e32 v40, 5, v40, vcc
	v_or_b32_sdwa v27, v40, v27 dst_sel:WORD_1 dst_unused:UNUSED_PAD src0_sel:BYTE_0 src1_sel:DWORD
	v_cmp_ne_u32_e32 vcc, 16, v23
	v_or_b32_sdwa v26, v26, v27 dst_sel:DWORD dst_unused:UNUSED_PAD src0_sel:WORD_0 src1_sel:DWORD
	;; [unrolled: 16-line block ×5, first 2 shown]
	v_cndmask_b32_e32 v42, 5, v20, vcc
	v_lshrrev_b32_e32 v43, 8, v20
	v_cmp_ne_u32_e32 vcc, 5, v23
	v_cndmask_b32_e32 v43, 5, v43, vcc
	v_lshlrev_b16_e32 v43, 8, v43
	v_or_b32_sdwa v42, v42, v43 dst_sel:DWORD dst_unused:UNUSED_PAD src0_sel:BYTE_0 src1_sel:DWORD
	v_lshrrev_b32_e32 v43, 24, v20
	v_cmp_ne_u32_e32 vcc, 7, v23
	v_cndmask_b32_e32 v43, 5, v43, vcc
	v_lshrrev_b32_e32 v44, 16, v20
	v_cmp_ne_u32_e32 vcc, 6, v23
	v_and_b32_e32 v24, 32, v16
	v_lshlrev_b16_e32 v43, 8, v43
	v_cndmask_b32_e32 v44, 5, v44, vcc
	v_or_b32_sdwa v43, v44, v43 dst_sel:WORD_1 dst_unused:UNUSED_PAD src0_sel:BYTE_0 src1_sel:DWORD
	v_cmp_eq_u32_e32 vcc, 0, v24
	v_bfe_u32 v24, v16, 5, 1
	v_or_b32_sdwa v42, v42, v43 dst_sel:DWORD dst_unused:UNUSED_PAD src0_sel:WORD_0 src1_sel:DWORD
	v_add_u32_e32 v23, v23, v24
	v_cndmask_b32_e32 v19, v25, v19, vcc
	v_cndmask_b32_e32 v20, v42, v20, vcc
	;; [unrolled: 1-line block ×6, first 2 shown]
	v_cmp_ne_u32_e32 vcc, 0, v23
	v_cndmask_b32_e32 v25, 6, v19, vcc
	v_lshrrev_b32_e32 v26, 8, v19
	v_cmp_ne_u32_e32 vcc, 1, v23
	v_cndmask_b32_e32 v26, 6, v26, vcc
	v_lshlrev_b16_e32 v26, 8, v26
	v_or_b32_sdwa v25, v25, v26 dst_sel:DWORD dst_unused:UNUSED_PAD src0_sel:BYTE_0 src1_sel:DWORD
	v_lshrrev_b32_e32 v26, 24, v19
	v_cmp_ne_u32_e32 vcc, 3, v23
	v_cndmask_b32_e32 v26, 6, v26, vcc
	v_lshrrev_b32_e32 v27, 16, v19
	v_cmp_ne_u32_e32 vcc, 2, v23
	v_lshlrev_b16_e32 v26, 8, v26
	v_cndmask_b32_e32 v27, 6, v27, vcc
	v_or_b32_sdwa v26, v27, v26 dst_sel:WORD_1 dst_unused:UNUSED_PAD src0_sel:BYTE_0 src1_sel:DWORD
	v_cmp_ne_u32_e32 vcc, 20, v23
	v_or_b32_sdwa v25, v25, v26 dst_sel:DWORD dst_unused:UNUSED_PAD src0_sel:WORD_0 src1_sel:DWORD
	v_cndmask_b32_e32 v26, 6, v22, vcc
	v_lshrrev_b32_e32 v27, 8, v22
	v_cmp_ne_u32_e32 vcc, 21, v23
	v_cndmask_b32_e32 v27, 6, v27, vcc
	v_lshlrev_b16_e32 v27, 8, v27
	v_or_b32_sdwa v26, v26, v27 dst_sel:DWORD dst_unused:UNUSED_PAD src0_sel:BYTE_0 src1_sel:DWORD
	v_lshrrev_b32_e32 v27, 24, v22
	v_cmp_ne_u32_e32 vcc, 23, v23
	v_cndmask_b32_e32 v27, 6, v27, vcc
	v_lshrrev_b32_e32 v40, 16, v22
	v_cmp_ne_u32_e32 vcc, 22, v23
	v_lshlrev_b16_e32 v27, 8, v27
	v_cndmask_b32_e32 v40, 6, v40, vcc
	v_or_b32_sdwa v27, v40, v27 dst_sel:WORD_1 dst_unused:UNUSED_PAD src0_sel:BYTE_0 src1_sel:DWORD
	v_cmp_ne_u32_e32 vcc, 16, v23
	v_or_b32_sdwa v26, v26, v27 dst_sel:DWORD dst_unused:UNUSED_PAD src0_sel:WORD_0 src1_sel:DWORD
	;; [unrolled: 16-line block ×5, first 2 shown]
	v_cndmask_b32_e32 v42, 6, v20, vcc
	v_lshrrev_b32_e32 v43, 8, v20
	v_cmp_ne_u32_e32 vcc, 5, v23
	v_cndmask_b32_e32 v43, 6, v43, vcc
	v_lshlrev_b16_e32 v43, 8, v43
	v_or_b32_sdwa v42, v42, v43 dst_sel:DWORD dst_unused:UNUSED_PAD src0_sel:BYTE_0 src1_sel:DWORD
	v_lshrrev_b32_e32 v43, 24, v20
	v_cmp_ne_u32_e32 vcc, 7, v23
	v_cndmask_b32_e32 v43, 6, v43, vcc
	v_lshrrev_b32_e32 v44, 16, v20
	v_cmp_ne_u32_e32 vcc, 6, v23
	v_and_b32_e32 v24, 64, v16
	v_lshlrev_b16_e32 v43, 8, v43
	v_cndmask_b32_e32 v44, 6, v44, vcc
	v_or_b32_sdwa v43, v44, v43 dst_sel:WORD_1 dst_unused:UNUSED_PAD src0_sel:BYTE_0 src1_sel:DWORD
	v_cmp_eq_u32_e32 vcc, 0, v24
	v_bfe_u32 v24, v16, 6, 1
	v_or_b32_sdwa v42, v42, v43 dst_sel:DWORD dst_unused:UNUSED_PAD src0_sel:WORD_0 src1_sel:DWORD
	v_add_u32_e32 v23, v23, v24
	v_cndmask_b32_e32 v19, v25, v19, vcc
	v_cndmask_b32_e32 v20, v42, v20, vcc
	;; [unrolled: 1-line block ×6, first 2 shown]
	v_cmp_ne_u32_e32 vcc, 0, v23
	v_cndmask_b32_e32 v25, 7, v19, vcc
	v_lshrrev_b32_e32 v26, 8, v19
	v_cmp_ne_u32_e32 vcc, 1, v23
	v_cndmask_b32_e32 v26, 7, v26, vcc
	v_lshlrev_b16_e32 v26, 8, v26
	v_or_b32_sdwa v25, v25, v26 dst_sel:DWORD dst_unused:UNUSED_PAD src0_sel:BYTE_0 src1_sel:DWORD
	v_lshrrev_b32_e32 v26, 24, v19
	v_cmp_ne_u32_e32 vcc, 3, v23
	v_cndmask_b32_e32 v26, 7, v26, vcc
	v_lshrrev_b32_e32 v27, 16, v19
	v_cmp_ne_u32_e32 vcc, 2, v23
	v_lshlrev_b16_e32 v26, 8, v26
	v_cndmask_b32_e32 v27, 7, v27, vcc
	v_or_b32_sdwa v26, v27, v26 dst_sel:WORD_1 dst_unused:UNUSED_PAD src0_sel:BYTE_0 src1_sel:DWORD
	v_cmp_ne_u32_e32 vcc, 20, v23
	v_or_b32_sdwa v25, v25, v26 dst_sel:DWORD dst_unused:UNUSED_PAD src0_sel:WORD_0 src1_sel:DWORD
	v_cndmask_b32_e32 v26, 7, v22, vcc
	v_lshrrev_b32_e32 v27, 8, v22
	v_cmp_ne_u32_e32 vcc, 21, v23
	v_cndmask_b32_e32 v27, 7, v27, vcc
	v_lshlrev_b16_e32 v27, 8, v27
	v_or_b32_sdwa v26, v26, v27 dst_sel:DWORD dst_unused:UNUSED_PAD src0_sel:BYTE_0 src1_sel:DWORD
	v_lshrrev_b32_e32 v27, 24, v22
	v_cmp_ne_u32_e32 vcc, 23, v23
	v_cndmask_b32_e32 v27, 7, v27, vcc
	v_lshrrev_b32_e32 v40, 16, v22
	v_cmp_ne_u32_e32 vcc, 22, v23
	v_lshlrev_b16_e32 v27, 8, v27
	v_cndmask_b32_e32 v40, 7, v40, vcc
	v_or_b32_sdwa v27, v40, v27 dst_sel:WORD_1 dst_unused:UNUSED_PAD src0_sel:BYTE_0 src1_sel:DWORD
	v_cmp_ne_u32_e32 vcc, 16, v23
	v_or_b32_sdwa v26, v26, v27 dst_sel:DWORD dst_unused:UNUSED_PAD src0_sel:WORD_0 src1_sel:DWORD
	;; [unrolled: 16-line block ×5, first 2 shown]
	v_cndmask_b32_e32 v42, 7, v20, vcc
	v_lshrrev_b32_e32 v43, 8, v20
	v_cmp_ne_u32_e32 vcc, 5, v23
	v_cndmask_b32_e32 v43, 7, v43, vcc
	v_lshlrev_b16_e32 v43, 8, v43
	v_or_b32_sdwa v42, v42, v43 dst_sel:DWORD dst_unused:UNUSED_PAD src0_sel:BYTE_0 src1_sel:DWORD
	v_lshrrev_b32_e32 v43, 24, v20
	v_cmp_ne_u32_e32 vcc, 7, v23
	v_cndmask_b32_e32 v43, 7, v43, vcc
	v_lshrrev_b32_e32 v44, 16, v20
	v_cmp_ne_u32_e32 vcc, 6, v23
	v_and_b32_e32 v24, 0x80, v16
	v_lshlrev_b16_e32 v43, 8, v43
	v_cndmask_b32_e32 v44, 7, v44, vcc
	v_or_b32_sdwa v43, v44, v43 dst_sel:WORD_1 dst_unused:UNUSED_PAD src0_sel:BYTE_0 src1_sel:DWORD
	v_cmp_eq_u32_e32 vcc, 0, v24
	v_bfe_u32 v24, v16, 7, 1
	v_or_b32_sdwa v42, v42, v43 dst_sel:DWORD dst_unused:UNUSED_PAD src0_sel:WORD_0 src1_sel:DWORD
	v_add_u32_e32 v23, v23, v24
	v_cndmask_b32_e32 v19, v25, v19, vcc
	v_cndmask_b32_e32 v20, v42, v20, vcc
	;; [unrolled: 1-line block ×6, first 2 shown]
	v_cmp_ne_u32_e32 vcc, 0, v23
	v_cndmask_b32_e32 v25, 8, v19, vcc
	v_lshrrev_b32_e32 v26, 8, v19
	v_cmp_ne_u32_e32 vcc, 1, v23
	v_cndmask_b32_e32 v26, 8, v26, vcc
	v_lshlrev_b16_e32 v26, 8, v26
	v_or_b32_sdwa v25, v25, v26 dst_sel:DWORD dst_unused:UNUSED_PAD src0_sel:BYTE_0 src1_sel:DWORD
	v_lshrrev_b32_e32 v26, 24, v19
	v_cmp_ne_u32_e32 vcc, 3, v23
	v_cndmask_b32_e32 v26, 8, v26, vcc
	v_lshrrev_b32_e32 v27, 16, v19
	v_cmp_ne_u32_e32 vcc, 2, v23
	v_lshlrev_b16_e32 v26, 8, v26
	v_cndmask_b32_e32 v27, 8, v27, vcc
	v_or_b32_sdwa v26, v27, v26 dst_sel:WORD_1 dst_unused:UNUSED_PAD src0_sel:BYTE_0 src1_sel:DWORD
	v_cmp_ne_u32_e32 vcc, 20, v23
	v_or_b32_sdwa v25, v25, v26 dst_sel:DWORD dst_unused:UNUSED_PAD src0_sel:WORD_0 src1_sel:DWORD
	v_cndmask_b32_e32 v26, 8, v22, vcc
	v_lshrrev_b32_e32 v27, 8, v22
	v_cmp_ne_u32_e32 vcc, 21, v23
	v_cndmask_b32_e32 v27, 8, v27, vcc
	v_lshlrev_b16_e32 v27, 8, v27
	v_or_b32_sdwa v26, v26, v27 dst_sel:DWORD dst_unused:UNUSED_PAD src0_sel:BYTE_0 src1_sel:DWORD
	v_lshrrev_b32_e32 v27, 24, v22
	v_cmp_ne_u32_e32 vcc, 23, v23
	v_cndmask_b32_e32 v27, 8, v27, vcc
	v_lshrrev_b32_e32 v40, 16, v22
	v_cmp_ne_u32_e32 vcc, 22, v23
	v_lshlrev_b16_e32 v27, 8, v27
	v_cndmask_b32_e32 v40, 8, v40, vcc
	v_or_b32_sdwa v27, v40, v27 dst_sel:WORD_1 dst_unused:UNUSED_PAD src0_sel:BYTE_0 src1_sel:DWORD
	v_cmp_ne_u32_e32 vcc, 16, v23
	v_or_b32_sdwa v26, v26, v27 dst_sel:DWORD dst_unused:UNUSED_PAD src0_sel:WORD_0 src1_sel:DWORD
	;; [unrolled: 16-line block ×5, first 2 shown]
	v_cndmask_b32_e32 v42, 8, v20, vcc
	v_lshrrev_b32_e32 v43, 8, v20
	v_cmp_ne_u32_e32 vcc, 5, v23
	v_cndmask_b32_e32 v43, 8, v43, vcc
	v_lshlrev_b16_e32 v43, 8, v43
	v_or_b32_sdwa v42, v42, v43 dst_sel:DWORD dst_unused:UNUSED_PAD src0_sel:BYTE_0 src1_sel:DWORD
	v_lshrrev_b32_e32 v43, 24, v20
	v_cmp_ne_u32_e32 vcc, 7, v23
	v_cndmask_b32_e32 v43, 8, v43, vcc
	v_lshrrev_b32_e32 v44, 16, v20
	v_cmp_ne_u32_e32 vcc, 6, v23
	v_and_b32_e32 v24, 0x100, v16
	v_lshlrev_b16_e32 v43, 8, v43
	v_cndmask_b32_e32 v44, 8, v44, vcc
	v_or_b32_sdwa v43, v44, v43 dst_sel:WORD_1 dst_unused:UNUSED_PAD src0_sel:BYTE_0 src1_sel:DWORD
	v_cmp_eq_u32_e32 vcc, 0, v24
	v_bfe_u32 v24, v16, 8, 1
	v_or_b32_sdwa v42, v42, v43 dst_sel:DWORD dst_unused:UNUSED_PAD src0_sel:WORD_0 src1_sel:DWORD
	v_add_u32_e32 v23, v23, v24
	v_cndmask_b32_e32 v19, v25, v19, vcc
	v_cndmask_b32_e32 v20, v42, v20, vcc
	;; [unrolled: 1-line block ×6, first 2 shown]
	v_cmp_ne_u32_e32 vcc, 0, v23
	v_cndmask_b32_e32 v25, 9, v19, vcc
	v_lshrrev_b32_e32 v26, 8, v19
	v_cmp_ne_u32_e32 vcc, 1, v23
	v_cndmask_b32_e32 v26, 9, v26, vcc
	v_lshlrev_b16_e32 v26, 8, v26
	v_or_b32_sdwa v25, v25, v26 dst_sel:DWORD dst_unused:UNUSED_PAD src0_sel:BYTE_0 src1_sel:DWORD
	v_lshrrev_b32_e32 v26, 24, v19
	v_cmp_ne_u32_e32 vcc, 3, v23
	v_cndmask_b32_e32 v26, 9, v26, vcc
	v_lshrrev_b32_e32 v27, 16, v19
	v_cmp_ne_u32_e32 vcc, 2, v23
	v_lshlrev_b16_e32 v26, 8, v26
	v_cndmask_b32_e32 v27, 9, v27, vcc
	v_or_b32_sdwa v26, v27, v26 dst_sel:WORD_1 dst_unused:UNUSED_PAD src0_sel:BYTE_0 src1_sel:DWORD
	v_cmp_ne_u32_e32 vcc, 20, v23
	v_or_b32_sdwa v25, v25, v26 dst_sel:DWORD dst_unused:UNUSED_PAD src0_sel:WORD_0 src1_sel:DWORD
	v_cndmask_b32_e32 v26, 9, v22, vcc
	v_lshrrev_b32_e32 v27, 8, v22
	v_cmp_ne_u32_e32 vcc, 21, v23
	v_cndmask_b32_e32 v27, 9, v27, vcc
	v_lshlrev_b16_e32 v27, 8, v27
	v_or_b32_sdwa v26, v26, v27 dst_sel:DWORD dst_unused:UNUSED_PAD src0_sel:BYTE_0 src1_sel:DWORD
	v_lshrrev_b32_e32 v27, 24, v22
	v_cmp_ne_u32_e32 vcc, 23, v23
	v_cndmask_b32_e32 v27, 9, v27, vcc
	v_lshrrev_b32_e32 v40, 16, v22
	v_cmp_ne_u32_e32 vcc, 22, v23
	v_lshlrev_b16_e32 v27, 8, v27
	v_cndmask_b32_e32 v40, 9, v40, vcc
	v_or_b32_sdwa v27, v40, v27 dst_sel:WORD_1 dst_unused:UNUSED_PAD src0_sel:BYTE_0 src1_sel:DWORD
	v_cmp_ne_u32_e32 vcc, 16, v23
	v_or_b32_sdwa v26, v26, v27 dst_sel:DWORD dst_unused:UNUSED_PAD src0_sel:WORD_0 src1_sel:DWORD
	;; [unrolled: 16-line block ×5, first 2 shown]
	v_cndmask_b32_e32 v42, 9, v20, vcc
	v_lshrrev_b32_e32 v43, 8, v20
	v_cmp_ne_u32_e32 vcc, 5, v23
	v_cndmask_b32_e32 v43, 9, v43, vcc
	v_lshlrev_b16_e32 v43, 8, v43
	v_or_b32_sdwa v42, v42, v43 dst_sel:DWORD dst_unused:UNUSED_PAD src0_sel:BYTE_0 src1_sel:DWORD
	v_lshrrev_b32_e32 v43, 24, v20
	v_cmp_ne_u32_e32 vcc, 7, v23
	v_cndmask_b32_e32 v43, 9, v43, vcc
	v_lshrrev_b32_e32 v44, 16, v20
	v_cmp_ne_u32_e32 vcc, 6, v23
	v_and_b32_e32 v24, 0x200, v16
	v_lshlrev_b16_e32 v43, 8, v43
	v_cndmask_b32_e32 v44, 9, v44, vcc
	v_or_b32_sdwa v43, v44, v43 dst_sel:WORD_1 dst_unused:UNUSED_PAD src0_sel:BYTE_0 src1_sel:DWORD
	v_cmp_eq_u32_e32 vcc, 0, v24
	v_bfe_u32 v24, v16, 9, 1
	v_or_b32_sdwa v42, v42, v43 dst_sel:DWORD dst_unused:UNUSED_PAD src0_sel:WORD_0 src1_sel:DWORD
	v_add_u32_e32 v23, v23, v24
	v_cndmask_b32_e32 v19, v25, v19, vcc
	v_cndmask_b32_e32 v20, v42, v20, vcc
	;; [unrolled: 1-line block ×6, first 2 shown]
	v_cmp_ne_u32_e32 vcc, 0, v23
	v_cndmask_b32_e32 v25, 10, v19, vcc
	v_lshrrev_b32_e32 v26, 8, v19
	v_cmp_ne_u32_e32 vcc, 1, v23
	v_cndmask_b32_e32 v26, 10, v26, vcc
	v_lshlrev_b16_e32 v26, 8, v26
	v_or_b32_sdwa v25, v25, v26 dst_sel:DWORD dst_unused:UNUSED_PAD src0_sel:BYTE_0 src1_sel:DWORD
	v_lshrrev_b32_e32 v26, 24, v19
	v_cmp_ne_u32_e32 vcc, 3, v23
	v_cndmask_b32_e32 v26, 10, v26, vcc
	v_lshrrev_b32_e32 v27, 16, v19
	v_cmp_ne_u32_e32 vcc, 2, v23
	v_lshlrev_b16_e32 v26, 8, v26
	v_cndmask_b32_e32 v27, 10, v27, vcc
	v_or_b32_sdwa v26, v27, v26 dst_sel:WORD_1 dst_unused:UNUSED_PAD src0_sel:BYTE_0 src1_sel:DWORD
	v_cmp_ne_u32_e32 vcc, 20, v23
	v_or_b32_sdwa v25, v25, v26 dst_sel:DWORD dst_unused:UNUSED_PAD src0_sel:WORD_0 src1_sel:DWORD
	v_cndmask_b32_e32 v26, 10, v22, vcc
	v_lshrrev_b32_e32 v27, 8, v22
	v_cmp_ne_u32_e32 vcc, 21, v23
	v_cndmask_b32_e32 v27, 10, v27, vcc
	v_lshlrev_b16_e32 v27, 8, v27
	v_or_b32_sdwa v26, v26, v27 dst_sel:DWORD dst_unused:UNUSED_PAD src0_sel:BYTE_0 src1_sel:DWORD
	v_lshrrev_b32_e32 v27, 24, v22
	v_cmp_ne_u32_e32 vcc, 23, v23
	v_cndmask_b32_e32 v27, 10, v27, vcc
	v_lshrrev_b32_e32 v40, 16, v22
	v_cmp_ne_u32_e32 vcc, 22, v23
	v_lshlrev_b16_e32 v27, 8, v27
	v_cndmask_b32_e32 v40, 10, v40, vcc
	v_or_b32_sdwa v27, v40, v27 dst_sel:WORD_1 dst_unused:UNUSED_PAD src0_sel:BYTE_0 src1_sel:DWORD
	v_cmp_ne_u32_e32 vcc, 16, v23
	v_or_b32_sdwa v26, v26, v27 dst_sel:DWORD dst_unused:UNUSED_PAD src0_sel:WORD_0 src1_sel:DWORD
	;; [unrolled: 16-line block ×5, first 2 shown]
	v_cndmask_b32_e32 v42, 10, v20, vcc
	v_lshrrev_b32_e32 v43, 8, v20
	v_cmp_ne_u32_e32 vcc, 5, v23
	v_cndmask_b32_e32 v43, 10, v43, vcc
	v_lshlrev_b16_e32 v43, 8, v43
	v_or_b32_sdwa v42, v42, v43 dst_sel:DWORD dst_unused:UNUSED_PAD src0_sel:BYTE_0 src1_sel:DWORD
	v_lshrrev_b32_e32 v43, 24, v20
	v_cmp_ne_u32_e32 vcc, 7, v23
	v_cndmask_b32_e32 v43, 10, v43, vcc
	v_lshrrev_b32_e32 v44, 16, v20
	v_cmp_ne_u32_e32 vcc, 6, v23
	v_and_b32_e32 v24, 0x400, v16
	v_lshlrev_b16_e32 v43, 8, v43
	v_cndmask_b32_e32 v44, 10, v44, vcc
	v_or_b32_sdwa v43, v44, v43 dst_sel:WORD_1 dst_unused:UNUSED_PAD src0_sel:BYTE_0 src1_sel:DWORD
	v_cmp_eq_u32_e32 vcc, 0, v24
	v_bfe_u32 v24, v16, 10, 1
	v_or_b32_sdwa v42, v42, v43 dst_sel:DWORD dst_unused:UNUSED_PAD src0_sel:WORD_0 src1_sel:DWORD
	v_add_u32_e32 v23, v23, v24
	v_cndmask_b32_e32 v19, v25, v19, vcc
	v_cndmask_b32_e32 v20, v42, v20, vcc
	;; [unrolled: 1-line block ×6, first 2 shown]
	v_cmp_ne_u32_e32 vcc, 0, v23
	v_cndmask_b32_e32 v25, 11, v19, vcc
	v_lshrrev_b32_e32 v26, 8, v19
	v_cmp_ne_u32_e32 vcc, 1, v23
	v_cndmask_b32_e32 v26, 11, v26, vcc
	v_lshlrev_b16_e32 v26, 8, v26
	v_or_b32_sdwa v25, v25, v26 dst_sel:DWORD dst_unused:UNUSED_PAD src0_sel:BYTE_0 src1_sel:DWORD
	v_lshrrev_b32_e32 v26, 24, v19
	v_cmp_ne_u32_e32 vcc, 3, v23
	v_cndmask_b32_e32 v26, 11, v26, vcc
	v_lshrrev_b32_e32 v27, 16, v19
	v_cmp_ne_u32_e32 vcc, 2, v23
	v_lshlrev_b16_e32 v26, 8, v26
	v_cndmask_b32_e32 v27, 11, v27, vcc
	v_or_b32_sdwa v26, v27, v26 dst_sel:WORD_1 dst_unused:UNUSED_PAD src0_sel:BYTE_0 src1_sel:DWORD
	v_cmp_ne_u32_e32 vcc, 20, v23
	v_or_b32_sdwa v25, v25, v26 dst_sel:DWORD dst_unused:UNUSED_PAD src0_sel:WORD_0 src1_sel:DWORD
	v_cndmask_b32_e32 v26, 11, v22, vcc
	v_lshrrev_b32_e32 v27, 8, v22
	v_cmp_ne_u32_e32 vcc, 21, v23
	v_cndmask_b32_e32 v27, 11, v27, vcc
	v_lshlrev_b16_e32 v27, 8, v27
	v_or_b32_sdwa v26, v26, v27 dst_sel:DWORD dst_unused:UNUSED_PAD src0_sel:BYTE_0 src1_sel:DWORD
	v_lshrrev_b32_e32 v27, 24, v22
	v_cmp_ne_u32_e32 vcc, 23, v23
	v_cndmask_b32_e32 v27, 11, v27, vcc
	v_lshrrev_b32_e32 v40, 16, v22
	v_cmp_ne_u32_e32 vcc, 22, v23
	v_lshlrev_b16_e32 v27, 8, v27
	v_cndmask_b32_e32 v40, 11, v40, vcc
	v_or_b32_sdwa v27, v40, v27 dst_sel:WORD_1 dst_unused:UNUSED_PAD src0_sel:BYTE_0 src1_sel:DWORD
	v_cmp_ne_u32_e32 vcc, 16, v23
	v_or_b32_sdwa v26, v26, v27 dst_sel:DWORD dst_unused:UNUSED_PAD src0_sel:WORD_0 src1_sel:DWORD
	;; [unrolled: 16-line block ×5, first 2 shown]
	v_cndmask_b32_e32 v42, 11, v20, vcc
	v_lshrrev_b32_e32 v43, 8, v20
	v_cmp_ne_u32_e32 vcc, 5, v23
	v_cndmask_b32_e32 v43, 11, v43, vcc
	v_lshlrev_b16_e32 v43, 8, v43
	v_or_b32_sdwa v42, v42, v43 dst_sel:DWORD dst_unused:UNUSED_PAD src0_sel:BYTE_0 src1_sel:DWORD
	v_lshrrev_b32_e32 v43, 24, v20
	v_cmp_ne_u32_e32 vcc, 7, v23
	v_cndmask_b32_e32 v43, 11, v43, vcc
	v_lshrrev_b32_e32 v44, 16, v20
	v_cmp_ne_u32_e32 vcc, 6, v23
	v_and_b32_e32 v24, 0x800, v16
	v_lshlrev_b16_e32 v43, 8, v43
	v_cndmask_b32_e32 v44, 11, v44, vcc
	v_or_b32_sdwa v43, v44, v43 dst_sel:WORD_1 dst_unused:UNUSED_PAD src0_sel:BYTE_0 src1_sel:DWORD
	v_cmp_eq_u32_e32 vcc, 0, v24
	v_bfe_u32 v24, v16, 11, 1
	v_or_b32_sdwa v42, v42, v43 dst_sel:DWORD dst_unused:UNUSED_PAD src0_sel:WORD_0 src1_sel:DWORD
	v_add_u32_e32 v23, v23, v24
	v_cndmask_b32_e32 v19, v25, v19, vcc
	v_cndmask_b32_e32 v20, v42, v20, vcc
	;; [unrolled: 1-line block ×6, first 2 shown]
	v_cmp_ne_u32_e32 vcc, 0, v23
	v_cndmask_b32_e32 v25, 12, v19, vcc
	v_lshrrev_b32_e32 v26, 8, v19
	v_cmp_ne_u32_e32 vcc, 1, v23
	v_cndmask_b32_e32 v26, 12, v26, vcc
	v_lshlrev_b16_e32 v26, 8, v26
	v_or_b32_sdwa v25, v25, v26 dst_sel:DWORD dst_unused:UNUSED_PAD src0_sel:BYTE_0 src1_sel:DWORD
	v_lshrrev_b32_e32 v26, 24, v19
	v_cmp_ne_u32_e32 vcc, 3, v23
	v_cndmask_b32_e32 v26, 12, v26, vcc
	v_lshrrev_b32_e32 v27, 16, v19
	v_cmp_ne_u32_e32 vcc, 2, v23
	v_lshlrev_b16_e32 v26, 8, v26
	v_cndmask_b32_e32 v27, 12, v27, vcc
	v_or_b32_sdwa v26, v27, v26 dst_sel:WORD_1 dst_unused:UNUSED_PAD src0_sel:BYTE_0 src1_sel:DWORD
	v_cmp_ne_u32_e32 vcc, 20, v23
	v_or_b32_sdwa v25, v25, v26 dst_sel:DWORD dst_unused:UNUSED_PAD src0_sel:WORD_0 src1_sel:DWORD
	v_cndmask_b32_e32 v26, 12, v22, vcc
	v_lshrrev_b32_e32 v27, 8, v22
	v_cmp_ne_u32_e32 vcc, 21, v23
	v_cndmask_b32_e32 v27, 12, v27, vcc
	v_lshlrev_b16_e32 v27, 8, v27
	v_or_b32_sdwa v26, v26, v27 dst_sel:DWORD dst_unused:UNUSED_PAD src0_sel:BYTE_0 src1_sel:DWORD
	v_lshrrev_b32_e32 v27, 24, v22
	v_cmp_ne_u32_e32 vcc, 23, v23
	v_cndmask_b32_e32 v27, 12, v27, vcc
	v_lshrrev_b32_e32 v40, 16, v22
	v_cmp_ne_u32_e32 vcc, 22, v23
	v_lshlrev_b16_e32 v27, 8, v27
	v_cndmask_b32_e32 v40, 12, v40, vcc
	v_or_b32_sdwa v27, v40, v27 dst_sel:WORD_1 dst_unused:UNUSED_PAD src0_sel:BYTE_0 src1_sel:DWORD
	v_cmp_ne_u32_e32 vcc, 16, v23
	v_or_b32_sdwa v26, v26, v27 dst_sel:DWORD dst_unused:UNUSED_PAD src0_sel:WORD_0 src1_sel:DWORD
	v_cndmask_b32_e32 v27, 12, v17, vcc
	v_lshrrev_b32_e32 v40, 8, v17
	v_cmp_ne_u32_e32 vcc, 17, v23
	v_cndmask_b32_e32 v40, 12, v40, vcc
	v_lshlrev_b16_e32 v40, 8, v40
	v_or_b32_sdwa v27, v27, v40 dst_sel:DWORD dst_unused:UNUSED_PAD src0_sel:BYTE_0 src1_sel:DWORD
	v_lshrrev_b32_e32 v40, 24, v17
	v_cmp_ne_u32_e32 vcc, 19, v23
	v_cndmask_b32_e32 v40, 12, v40, vcc
	v_lshrrev_b32_e32 v41, 16, v17
	v_cmp_ne_u32_e32 vcc, 18, v23
	v_lshlrev_b16_e32 v40, 8, v40
	v_cndmask_b32_e32 v41, 12, v41, vcc
	v_or_b32_sdwa v40, v41, v40 dst_sel:WORD_1 dst_unused:UNUSED_PAD src0_sel:BYTE_0 src1_sel:DWORD
	v_cmp_ne_u32_e32 vcc, 12, v23
	v_or_b32_sdwa v27, v27, v40 dst_sel:DWORD dst_unused:UNUSED_PAD src0_sel:WORD_0 src1_sel:DWORD
	v_cndmask_b32_e32 v40, 12, v21, vcc
	v_lshrrev_b32_e32 v41, 8, v21
	v_cmp_ne_u32_e32 vcc, 13, v23
	v_cndmask_b32_e32 v41, 12, v41, vcc
	v_lshlrev_b16_e32 v41, 8, v41
	v_or_b32_sdwa v40, v40, v41 dst_sel:DWORD dst_unused:UNUSED_PAD src0_sel:BYTE_0 src1_sel:DWORD
	v_lshrrev_b32_e32 v41, 24, v21
	v_cmp_ne_u32_e32 vcc, 15, v23
	v_cndmask_b32_e32 v41, 12, v41, vcc
	v_lshrrev_b32_e32 v42, 16, v21
	v_cmp_ne_u32_e32 vcc, 14, v23
	v_lshlrev_b16_e32 v41, 8, v41
	v_cndmask_b32_e32 v42, 12, v42, vcc
	v_or_b32_sdwa v41, v42, v41 dst_sel:WORD_1 dst_unused:UNUSED_PAD src0_sel:BYTE_0 src1_sel:DWORD
	v_cmp_ne_u32_e32 vcc, 8, v23
	v_or_b32_sdwa v40, v40, v41 dst_sel:DWORD dst_unused:UNUSED_PAD src0_sel:WORD_0 src1_sel:DWORD
	v_cndmask_b32_e32 v41, 12, v18, vcc
	v_lshrrev_b32_e32 v42, 8, v18
	v_cmp_ne_u32_e32 vcc, 9, v23
	v_cndmask_b32_e32 v42, 12, v42, vcc
	v_lshlrev_b16_e32 v42, 8, v42
	v_or_b32_sdwa v41, v41, v42 dst_sel:DWORD dst_unused:UNUSED_PAD src0_sel:BYTE_0 src1_sel:DWORD
	v_lshrrev_b32_e32 v42, 24, v18
	v_cmp_ne_u32_e32 vcc, 11, v23
	v_cndmask_b32_e32 v42, 12, v42, vcc
	v_lshrrev_b32_e32 v43, 16, v18
	v_cmp_ne_u32_e32 vcc, 10, v23
	v_lshlrev_b16_e32 v42, 8, v42
	v_cndmask_b32_e32 v43, 12, v43, vcc
	v_or_b32_sdwa v42, v43, v42 dst_sel:WORD_1 dst_unused:UNUSED_PAD src0_sel:BYTE_0 src1_sel:DWORD
	v_cmp_ne_u32_e32 vcc, 4, v23
	v_or_b32_sdwa v41, v41, v42 dst_sel:DWORD dst_unused:UNUSED_PAD src0_sel:WORD_0 src1_sel:DWORD
	v_cndmask_b32_e32 v42, 12, v20, vcc
	v_lshrrev_b32_e32 v43, 8, v20
	v_cmp_ne_u32_e32 vcc, 5, v23
	v_cndmask_b32_e32 v43, 12, v43, vcc
	v_lshlrev_b16_e32 v43, 8, v43
	v_or_b32_sdwa v42, v42, v43 dst_sel:DWORD dst_unused:UNUSED_PAD src0_sel:BYTE_0 src1_sel:DWORD
	v_lshrrev_b32_e32 v43, 24, v20
	v_cmp_ne_u32_e32 vcc, 7, v23
	v_cndmask_b32_e32 v43, 12, v43, vcc
	v_lshrrev_b32_e32 v44, 16, v20
	v_cmp_ne_u32_e32 vcc, 6, v23
	v_and_b32_e32 v24, 0x1000, v16
	v_lshlrev_b16_e32 v43, 8, v43
	v_cndmask_b32_e32 v44, 12, v44, vcc
	v_or_b32_sdwa v43, v44, v43 dst_sel:WORD_1 dst_unused:UNUSED_PAD src0_sel:BYTE_0 src1_sel:DWORD
	v_cmp_eq_u32_e32 vcc, 0, v24
	v_bfe_u32 v24, v16, 12, 1
	v_or_b32_sdwa v42, v42, v43 dst_sel:DWORD dst_unused:UNUSED_PAD src0_sel:WORD_0 src1_sel:DWORD
	v_add_u32_e32 v23, v23, v24
	v_cndmask_b32_e32 v19, v25, v19, vcc
	v_cndmask_b32_e32 v20, v42, v20, vcc
	;; [unrolled: 1-line block ×6, first 2 shown]
	v_cmp_ne_u32_e32 vcc, 0, v23
	v_cndmask_b32_e32 v25, 13, v19, vcc
	v_lshrrev_b32_e32 v26, 8, v19
	v_cmp_ne_u32_e32 vcc, 1, v23
	v_cndmask_b32_e32 v26, 13, v26, vcc
	v_lshlrev_b16_e32 v26, 8, v26
	v_or_b32_sdwa v25, v25, v26 dst_sel:DWORD dst_unused:UNUSED_PAD src0_sel:BYTE_0 src1_sel:DWORD
	v_lshrrev_b32_e32 v26, 24, v19
	v_cmp_ne_u32_e32 vcc, 3, v23
	v_cndmask_b32_e32 v26, 13, v26, vcc
	v_lshrrev_b32_e32 v27, 16, v19
	v_cmp_ne_u32_e32 vcc, 2, v23
	v_lshlrev_b16_e32 v26, 8, v26
	v_cndmask_b32_e32 v27, 13, v27, vcc
	v_or_b32_sdwa v26, v27, v26 dst_sel:WORD_1 dst_unused:UNUSED_PAD src0_sel:BYTE_0 src1_sel:DWORD
	v_cmp_ne_u32_e32 vcc, 20, v23
	v_or_b32_sdwa v25, v25, v26 dst_sel:DWORD dst_unused:UNUSED_PAD src0_sel:WORD_0 src1_sel:DWORD
	v_cndmask_b32_e32 v26, 13, v22, vcc
	v_lshrrev_b32_e32 v27, 8, v22
	v_cmp_ne_u32_e32 vcc, 21, v23
	v_cndmask_b32_e32 v27, 13, v27, vcc
	v_lshlrev_b16_e32 v27, 8, v27
	v_or_b32_sdwa v26, v26, v27 dst_sel:DWORD dst_unused:UNUSED_PAD src0_sel:BYTE_0 src1_sel:DWORD
	v_lshrrev_b32_e32 v27, 24, v22
	v_cmp_ne_u32_e32 vcc, 23, v23
	v_cndmask_b32_e32 v27, 13, v27, vcc
	v_lshrrev_b32_e32 v40, 16, v22
	v_cmp_ne_u32_e32 vcc, 22, v23
	v_lshlrev_b16_e32 v27, 8, v27
	v_cndmask_b32_e32 v40, 13, v40, vcc
	v_or_b32_sdwa v27, v40, v27 dst_sel:WORD_1 dst_unused:UNUSED_PAD src0_sel:BYTE_0 src1_sel:DWORD
	v_cmp_ne_u32_e32 vcc, 16, v23
	v_or_b32_sdwa v26, v26, v27 dst_sel:DWORD dst_unused:UNUSED_PAD src0_sel:WORD_0 src1_sel:DWORD
	;; [unrolled: 16-line block ×5, first 2 shown]
	v_cndmask_b32_e32 v42, 13, v20, vcc
	v_lshrrev_b32_e32 v43, 8, v20
	v_cmp_ne_u32_e32 vcc, 5, v23
	v_cndmask_b32_e32 v43, 13, v43, vcc
	v_lshlrev_b16_e32 v43, 8, v43
	v_or_b32_sdwa v42, v42, v43 dst_sel:DWORD dst_unused:UNUSED_PAD src0_sel:BYTE_0 src1_sel:DWORD
	v_lshrrev_b32_e32 v43, 24, v20
	v_cmp_ne_u32_e32 vcc, 7, v23
	v_cndmask_b32_e32 v43, 13, v43, vcc
	v_lshrrev_b32_e32 v44, 16, v20
	v_cmp_ne_u32_e32 vcc, 6, v23
	v_and_b32_e32 v24, 0x2000, v16
	v_lshlrev_b16_e32 v43, 8, v43
	v_cndmask_b32_e32 v44, 13, v44, vcc
	v_or_b32_sdwa v43, v44, v43 dst_sel:WORD_1 dst_unused:UNUSED_PAD src0_sel:BYTE_0 src1_sel:DWORD
	v_cmp_eq_u32_e32 vcc, 0, v24
	v_bfe_u32 v24, v16, 13, 1
	v_or_b32_sdwa v42, v42, v43 dst_sel:DWORD dst_unused:UNUSED_PAD src0_sel:WORD_0 src1_sel:DWORD
	v_add_u32_e32 v23, v23, v24
	v_cndmask_b32_e32 v19, v25, v19, vcc
	v_cndmask_b32_e32 v20, v42, v20, vcc
	;; [unrolled: 1-line block ×6, first 2 shown]
	v_cmp_ne_u32_e32 vcc, 0, v23
	v_cndmask_b32_e32 v25, 14, v19, vcc
	v_lshrrev_b32_e32 v26, 8, v19
	v_cmp_ne_u32_e32 vcc, 1, v23
	v_cndmask_b32_e32 v26, 14, v26, vcc
	v_lshlrev_b16_e32 v26, 8, v26
	v_or_b32_sdwa v25, v25, v26 dst_sel:DWORD dst_unused:UNUSED_PAD src0_sel:BYTE_0 src1_sel:DWORD
	v_lshrrev_b32_e32 v26, 24, v19
	v_cmp_ne_u32_e32 vcc, 3, v23
	v_cndmask_b32_e32 v26, 14, v26, vcc
	v_lshrrev_b32_e32 v27, 16, v19
	v_cmp_ne_u32_e32 vcc, 2, v23
	v_lshlrev_b16_e32 v26, 8, v26
	v_cndmask_b32_e32 v27, 14, v27, vcc
	v_or_b32_sdwa v26, v27, v26 dst_sel:WORD_1 dst_unused:UNUSED_PAD src0_sel:BYTE_0 src1_sel:DWORD
	v_cmp_ne_u32_e32 vcc, 20, v23
	v_or_b32_sdwa v25, v25, v26 dst_sel:DWORD dst_unused:UNUSED_PAD src0_sel:WORD_0 src1_sel:DWORD
	v_cndmask_b32_e32 v26, 14, v22, vcc
	v_lshrrev_b32_e32 v27, 8, v22
	v_cmp_ne_u32_e32 vcc, 21, v23
	v_cndmask_b32_e32 v27, 14, v27, vcc
	v_lshlrev_b16_e32 v27, 8, v27
	v_or_b32_sdwa v26, v26, v27 dst_sel:DWORD dst_unused:UNUSED_PAD src0_sel:BYTE_0 src1_sel:DWORD
	v_lshrrev_b32_e32 v27, 24, v22
	v_cmp_ne_u32_e32 vcc, 23, v23
	v_cndmask_b32_e32 v27, 14, v27, vcc
	v_lshrrev_b32_e32 v40, 16, v22
	v_cmp_ne_u32_e32 vcc, 22, v23
	v_lshlrev_b16_e32 v27, 8, v27
	v_cndmask_b32_e32 v40, 14, v40, vcc
	v_or_b32_sdwa v27, v40, v27 dst_sel:WORD_1 dst_unused:UNUSED_PAD src0_sel:BYTE_0 src1_sel:DWORD
	v_cmp_ne_u32_e32 vcc, 16, v23
	v_or_b32_sdwa v26, v26, v27 dst_sel:DWORD dst_unused:UNUSED_PAD src0_sel:WORD_0 src1_sel:DWORD
	;; [unrolled: 16-line block ×5, first 2 shown]
	v_cndmask_b32_e32 v42, 14, v20, vcc
	v_lshrrev_b32_e32 v43, 8, v20
	v_cmp_ne_u32_e32 vcc, 5, v23
	v_cndmask_b32_e32 v43, 14, v43, vcc
	v_lshlrev_b16_e32 v43, 8, v43
	v_or_b32_sdwa v42, v42, v43 dst_sel:DWORD dst_unused:UNUSED_PAD src0_sel:BYTE_0 src1_sel:DWORD
	v_lshrrev_b32_e32 v43, 24, v20
	v_cmp_ne_u32_e32 vcc, 7, v23
	v_cndmask_b32_e32 v43, 14, v43, vcc
	v_lshrrev_b32_e32 v44, 16, v20
	v_cmp_ne_u32_e32 vcc, 6, v23
	v_and_b32_e32 v24, 0x4000, v16
	v_lshlrev_b16_e32 v43, 8, v43
	v_cndmask_b32_e32 v44, 14, v44, vcc
	v_or_b32_sdwa v43, v44, v43 dst_sel:WORD_1 dst_unused:UNUSED_PAD src0_sel:BYTE_0 src1_sel:DWORD
	v_cmp_eq_u32_e32 vcc, 0, v24
	v_bfe_u32 v24, v16, 14, 1
	v_or_b32_sdwa v42, v42, v43 dst_sel:DWORD dst_unused:UNUSED_PAD src0_sel:WORD_0 src1_sel:DWORD
	v_add_u32_e32 v23, v23, v24
	v_cndmask_b32_e32 v19, v25, v19, vcc
	v_cndmask_b32_e32 v20, v42, v20, vcc
	;; [unrolled: 1-line block ×6, first 2 shown]
	v_cmp_ne_u32_e32 vcc, 0, v23
	v_cndmask_b32_e32 v25, 15, v19, vcc
	v_lshrrev_b32_e32 v26, 8, v19
	v_cmp_ne_u32_e32 vcc, 1, v23
	v_cndmask_b32_e32 v26, 15, v26, vcc
	v_lshlrev_b16_e32 v26, 8, v26
	v_or_b32_sdwa v25, v25, v26 dst_sel:DWORD dst_unused:UNUSED_PAD src0_sel:BYTE_0 src1_sel:DWORD
	v_lshrrev_b32_e32 v26, 24, v19
	v_cmp_ne_u32_e32 vcc, 3, v23
	v_cndmask_b32_e32 v26, 15, v26, vcc
	v_lshrrev_b32_e32 v27, 16, v19
	v_cmp_ne_u32_e32 vcc, 2, v23
	v_lshlrev_b16_e32 v26, 8, v26
	v_cndmask_b32_e32 v27, 15, v27, vcc
	v_or_b32_sdwa v26, v27, v26 dst_sel:WORD_1 dst_unused:UNUSED_PAD src0_sel:BYTE_0 src1_sel:DWORD
	v_cmp_ne_u32_e32 vcc, 20, v23
	v_or_b32_sdwa v25, v25, v26 dst_sel:DWORD dst_unused:UNUSED_PAD src0_sel:WORD_0 src1_sel:DWORD
	v_cndmask_b32_e32 v26, 15, v22, vcc
	v_lshrrev_b32_e32 v27, 8, v22
	v_cmp_ne_u32_e32 vcc, 21, v23
	v_cndmask_b32_e32 v27, 15, v27, vcc
	v_lshlrev_b16_e32 v27, 8, v27
	v_or_b32_sdwa v26, v26, v27 dst_sel:DWORD dst_unused:UNUSED_PAD src0_sel:BYTE_0 src1_sel:DWORD
	v_lshrrev_b32_e32 v27, 24, v22
	v_cmp_ne_u32_e32 vcc, 23, v23
	v_cndmask_b32_e32 v27, 15, v27, vcc
	v_lshrrev_b32_e32 v40, 16, v22
	v_cmp_ne_u32_e32 vcc, 22, v23
	v_lshlrev_b16_e32 v27, 8, v27
	v_cndmask_b32_e32 v40, 15, v40, vcc
	v_or_b32_sdwa v27, v40, v27 dst_sel:WORD_1 dst_unused:UNUSED_PAD src0_sel:BYTE_0 src1_sel:DWORD
	v_cmp_ne_u32_e32 vcc, 16, v23
	v_or_b32_sdwa v26, v26, v27 dst_sel:DWORD dst_unused:UNUSED_PAD src0_sel:WORD_0 src1_sel:DWORD
	;; [unrolled: 16-line block ×5, first 2 shown]
	v_cndmask_b32_e32 v42, 15, v20, vcc
	v_lshrrev_b32_e32 v43, 8, v20
	v_cmp_ne_u32_e32 vcc, 5, v23
	v_cndmask_b32_e32 v43, 15, v43, vcc
	v_lshlrev_b16_e32 v43, 8, v43
	v_or_b32_sdwa v42, v42, v43 dst_sel:DWORD dst_unused:UNUSED_PAD src0_sel:BYTE_0 src1_sel:DWORD
	v_lshrrev_b32_e32 v43, 24, v20
	v_cmp_ne_u32_e32 vcc, 7, v23
	v_cndmask_b32_e32 v43, 15, v43, vcc
	v_lshrrev_b32_e32 v44, 16, v20
	v_cmp_ne_u32_e32 vcc, 6, v23
	v_and_b32_e32 v24, 0x8000, v16
	v_lshlrev_b16_e32 v43, 8, v43
	v_cndmask_b32_e32 v44, 15, v44, vcc
	v_or_b32_sdwa v43, v44, v43 dst_sel:WORD_1 dst_unused:UNUSED_PAD src0_sel:BYTE_0 src1_sel:DWORD
	v_cmp_eq_u32_e32 vcc, 0, v24
	v_bfe_u32 v24, v16, 15, 1
	v_or_b32_sdwa v42, v42, v43 dst_sel:DWORD dst_unused:UNUSED_PAD src0_sel:WORD_0 src1_sel:DWORD
	v_add_u32_e32 v23, v23, v24
	v_cndmask_b32_e32 v19, v25, v19, vcc
	v_cndmask_b32_e32 v20, v42, v20, vcc
	;; [unrolled: 1-line block ×6, first 2 shown]
	v_cmp_ne_u32_e32 vcc, 0, v23
	v_cndmask_b32_e32 v25, 16, v19, vcc
	v_lshrrev_b32_e32 v26, 8, v19
	v_cmp_ne_u32_e32 vcc, 1, v23
	v_cndmask_b32_e32 v26, 16, v26, vcc
	v_lshlrev_b16_e32 v26, 8, v26
	v_or_b32_sdwa v25, v25, v26 dst_sel:DWORD dst_unused:UNUSED_PAD src0_sel:BYTE_0 src1_sel:DWORD
	v_lshrrev_b32_e32 v26, 24, v19
	v_cmp_ne_u32_e32 vcc, 3, v23
	v_cndmask_b32_e32 v26, 16, v26, vcc
	v_lshrrev_b32_e32 v27, 16, v19
	v_cmp_ne_u32_e32 vcc, 2, v23
	v_lshlrev_b16_e32 v26, 8, v26
	v_cndmask_b32_e32 v27, 16, v27, vcc
	v_or_b32_sdwa v26, v27, v26 dst_sel:WORD_1 dst_unused:UNUSED_PAD src0_sel:BYTE_0 src1_sel:DWORD
	v_cmp_ne_u32_e32 vcc, 20, v23
	v_or_b32_sdwa v25, v25, v26 dst_sel:DWORD dst_unused:UNUSED_PAD src0_sel:WORD_0 src1_sel:DWORD
	v_cndmask_b32_e32 v26, 16, v22, vcc
	v_lshrrev_b32_e32 v27, 8, v22
	v_cmp_ne_u32_e32 vcc, 21, v23
	v_cndmask_b32_e32 v27, 16, v27, vcc
	v_lshlrev_b16_e32 v27, 8, v27
	v_or_b32_sdwa v26, v26, v27 dst_sel:DWORD dst_unused:UNUSED_PAD src0_sel:BYTE_0 src1_sel:DWORD
	v_lshrrev_b32_e32 v27, 24, v22
	v_cmp_ne_u32_e32 vcc, 23, v23
	v_cndmask_b32_e32 v27, 16, v27, vcc
	v_lshrrev_b32_e32 v40, 16, v22
	v_cmp_ne_u32_e32 vcc, 22, v23
	v_lshlrev_b16_e32 v27, 8, v27
	v_cndmask_b32_e32 v40, 16, v40, vcc
	v_or_b32_sdwa v27, v40, v27 dst_sel:WORD_1 dst_unused:UNUSED_PAD src0_sel:BYTE_0 src1_sel:DWORD
	v_cmp_ne_u32_e32 vcc, 16, v23
	v_or_b32_sdwa v26, v26, v27 dst_sel:DWORD dst_unused:UNUSED_PAD src0_sel:WORD_0 src1_sel:DWORD
	v_cndmask_b32_e32 v27, 16, v17, vcc
	v_lshrrev_b32_e32 v40, 8, v17
	v_cmp_ne_u32_e32 vcc, 17, v23
	v_cndmask_b32_e32 v40, 16, v40, vcc
	v_lshlrev_b16_e32 v40, 8, v40
	v_or_b32_sdwa v27, v27, v40 dst_sel:DWORD dst_unused:UNUSED_PAD src0_sel:BYTE_0 src1_sel:DWORD
	v_lshrrev_b32_e32 v40, 24, v17
	v_cmp_ne_u32_e32 vcc, 19, v23
	v_cndmask_b32_e32 v40, 16, v40, vcc
	v_lshrrev_b32_e32 v41, 16, v17
	v_cmp_ne_u32_e32 vcc, 18, v23
	v_lshlrev_b16_e32 v40, 8, v40
	v_cndmask_b32_e32 v41, 16, v41, vcc
	v_or_b32_sdwa v40, v41, v40 dst_sel:WORD_1 dst_unused:UNUSED_PAD src0_sel:BYTE_0 src1_sel:DWORD
	v_cmp_ne_u32_e32 vcc, 12, v23
	v_or_b32_sdwa v27, v27, v40 dst_sel:DWORD dst_unused:UNUSED_PAD src0_sel:WORD_0 src1_sel:DWORD
	v_cndmask_b32_e32 v40, 16, v21, vcc
	v_lshrrev_b32_e32 v41, 8, v21
	v_cmp_ne_u32_e32 vcc, 13, v23
	v_cndmask_b32_e32 v41, 16, v41, vcc
	v_lshlrev_b16_e32 v41, 8, v41
	v_or_b32_sdwa v40, v40, v41 dst_sel:DWORD dst_unused:UNUSED_PAD src0_sel:BYTE_0 src1_sel:DWORD
	v_lshrrev_b32_e32 v41, 24, v21
	v_cmp_ne_u32_e32 vcc, 15, v23
	v_cndmask_b32_e32 v41, 16, v41, vcc
	v_lshrrev_b32_e32 v42, 16, v21
	v_cmp_ne_u32_e32 vcc, 14, v23
	v_lshlrev_b16_e32 v41, 8, v41
	v_cndmask_b32_e32 v42, 16, v42, vcc
	v_or_b32_sdwa v41, v42, v41 dst_sel:WORD_1 dst_unused:UNUSED_PAD src0_sel:BYTE_0 src1_sel:DWORD
	v_cmp_ne_u32_e32 vcc, 8, v23
	v_or_b32_sdwa v40, v40, v41 dst_sel:DWORD dst_unused:UNUSED_PAD src0_sel:WORD_0 src1_sel:DWORD
	v_cndmask_b32_e32 v41, 16, v18, vcc
	v_lshrrev_b32_e32 v42, 8, v18
	v_cmp_ne_u32_e32 vcc, 9, v23
	v_cndmask_b32_e32 v42, 16, v42, vcc
	v_lshlrev_b16_e32 v42, 8, v42
	v_or_b32_sdwa v41, v41, v42 dst_sel:DWORD dst_unused:UNUSED_PAD src0_sel:BYTE_0 src1_sel:DWORD
	v_lshrrev_b32_e32 v42, 24, v18
	v_cmp_ne_u32_e32 vcc, 11, v23
	v_cndmask_b32_e32 v42, 16, v42, vcc
	v_lshrrev_b32_e32 v43, 16, v18
	v_cmp_ne_u32_e32 vcc, 10, v23
	v_lshlrev_b16_e32 v42, 8, v42
	v_cndmask_b32_e32 v43, 16, v43, vcc
	v_or_b32_sdwa v42, v43, v42 dst_sel:WORD_1 dst_unused:UNUSED_PAD src0_sel:BYTE_0 src1_sel:DWORD
	v_cmp_ne_u32_e32 vcc, 4, v23
	v_or_b32_sdwa v41, v41, v42 dst_sel:DWORD dst_unused:UNUSED_PAD src0_sel:WORD_0 src1_sel:DWORD
	v_cndmask_b32_e32 v42, 16, v20, vcc
	v_lshrrev_b32_e32 v43, 8, v20
	v_cmp_ne_u32_e32 vcc, 5, v23
	v_cndmask_b32_e32 v43, 16, v43, vcc
	v_lshlrev_b16_e32 v43, 8, v43
	v_or_b32_sdwa v42, v42, v43 dst_sel:DWORD dst_unused:UNUSED_PAD src0_sel:BYTE_0 src1_sel:DWORD
	v_lshrrev_b32_e32 v43, 24, v20
	v_cmp_ne_u32_e32 vcc, 7, v23
	v_cndmask_b32_e32 v43, 16, v43, vcc
	v_lshrrev_b32_e32 v44, 16, v20
	v_cmp_ne_u32_e32 vcc, 6, v23
	v_and_b32_e32 v24, 0x10000, v16
	v_lshlrev_b16_e32 v43, 8, v43
	v_cndmask_b32_e32 v44, 16, v44, vcc
	v_or_b32_sdwa v43, v44, v43 dst_sel:WORD_1 dst_unused:UNUSED_PAD src0_sel:BYTE_0 src1_sel:DWORD
	v_cmp_eq_u32_e32 vcc, 0, v24
	v_bfe_u32 v24, v16, 16, 1
	v_or_b32_sdwa v42, v42, v43 dst_sel:DWORD dst_unused:UNUSED_PAD src0_sel:WORD_0 src1_sel:DWORD
	v_add_u32_e32 v23, v23, v24
	v_cndmask_b32_e32 v19, v25, v19, vcc
	v_cndmask_b32_e32 v20, v42, v20, vcc
	;; [unrolled: 1-line block ×6, first 2 shown]
	v_cmp_ne_u32_e32 vcc, 0, v23
	v_cndmask_b32_e32 v25, 17, v19, vcc
	v_lshrrev_b32_e32 v26, 8, v19
	v_cmp_ne_u32_e32 vcc, 1, v23
	v_cndmask_b32_e32 v26, 17, v26, vcc
	v_lshlrev_b16_e32 v26, 8, v26
	v_or_b32_sdwa v25, v25, v26 dst_sel:DWORD dst_unused:UNUSED_PAD src0_sel:BYTE_0 src1_sel:DWORD
	v_lshrrev_b32_e32 v26, 24, v19
	v_cmp_ne_u32_e32 vcc, 3, v23
	v_cndmask_b32_e32 v26, 17, v26, vcc
	v_lshrrev_b32_e32 v27, 16, v19
	v_cmp_ne_u32_e32 vcc, 2, v23
	v_lshlrev_b16_e32 v26, 8, v26
	v_cndmask_b32_e32 v27, 17, v27, vcc
	v_or_b32_sdwa v26, v27, v26 dst_sel:WORD_1 dst_unused:UNUSED_PAD src0_sel:BYTE_0 src1_sel:DWORD
	v_cmp_ne_u32_e32 vcc, 20, v23
	v_or_b32_sdwa v25, v25, v26 dst_sel:DWORD dst_unused:UNUSED_PAD src0_sel:WORD_0 src1_sel:DWORD
	v_cndmask_b32_e32 v26, 17, v22, vcc
	v_lshrrev_b32_e32 v27, 8, v22
	v_cmp_ne_u32_e32 vcc, 21, v23
	v_cndmask_b32_e32 v27, 17, v27, vcc
	v_lshlrev_b16_e32 v27, 8, v27
	v_or_b32_sdwa v26, v26, v27 dst_sel:DWORD dst_unused:UNUSED_PAD src0_sel:BYTE_0 src1_sel:DWORD
	v_lshrrev_b32_e32 v27, 24, v22
	v_cmp_ne_u32_e32 vcc, 23, v23
	v_cndmask_b32_e32 v27, 17, v27, vcc
	v_lshrrev_b32_e32 v40, 16, v22
	v_cmp_ne_u32_e32 vcc, 22, v23
	v_lshlrev_b16_e32 v27, 8, v27
	v_cndmask_b32_e32 v40, 17, v40, vcc
	v_or_b32_sdwa v27, v40, v27 dst_sel:WORD_1 dst_unused:UNUSED_PAD src0_sel:BYTE_0 src1_sel:DWORD
	v_cmp_ne_u32_e32 vcc, 16, v23
	v_or_b32_sdwa v26, v26, v27 dst_sel:DWORD dst_unused:UNUSED_PAD src0_sel:WORD_0 src1_sel:DWORD
	;; [unrolled: 16-line block ×5, first 2 shown]
	v_cndmask_b32_e32 v42, 17, v20, vcc
	v_lshrrev_b32_e32 v43, 8, v20
	v_cmp_ne_u32_e32 vcc, 5, v23
	v_cndmask_b32_e32 v43, 17, v43, vcc
	v_lshlrev_b16_e32 v43, 8, v43
	v_or_b32_sdwa v42, v42, v43 dst_sel:DWORD dst_unused:UNUSED_PAD src0_sel:BYTE_0 src1_sel:DWORD
	v_lshrrev_b32_e32 v43, 24, v20
	v_cmp_ne_u32_e32 vcc, 7, v23
	v_cndmask_b32_e32 v43, 17, v43, vcc
	v_lshrrev_b32_e32 v44, 16, v20
	v_cmp_ne_u32_e32 vcc, 6, v23
	v_and_b32_e32 v24, 0x20000, v16
	v_lshlrev_b16_e32 v43, 8, v43
	v_cndmask_b32_e32 v44, 17, v44, vcc
	v_or_b32_sdwa v43, v44, v43 dst_sel:WORD_1 dst_unused:UNUSED_PAD src0_sel:BYTE_0 src1_sel:DWORD
	v_cmp_eq_u32_e32 vcc, 0, v24
	v_bfe_u32 v24, v16, 17, 1
	v_or_b32_sdwa v42, v42, v43 dst_sel:DWORD dst_unused:UNUSED_PAD src0_sel:WORD_0 src1_sel:DWORD
	v_add_u32_e32 v23, v23, v24
	v_cndmask_b32_e32 v19, v25, v19, vcc
	v_cndmask_b32_e32 v20, v42, v20, vcc
	;; [unrolled: 1-line block ×6, first 2 shown]
	v_cmp_ne_u32_e32 vcc, 0, v23
	v_cndmask_b32_e32 v25, 18, v19, vcc
	v_lshrrev_b32_e32 v26, 8, v19
	v_cmp_ne_u32_e32 vcc, 1, v23
	v_cndmask_b32_e32 v26, 18, v26, vcc
	v_lshlrev_b16_e32 v26, 8, v26
	v_or_b32_sdwa v25, v25, v26 dst_sel:DWORD dst_unused:UNUSED_PAD src0_sel:BYTE_0 src1_sel:DWORD
	v_lshrrev_b32_e32 v26, 24, v19
	v_cmp_ne_u32_e32 vcc, 3, v23
	v_cndmask_b32_e32 v26, 18, v26, vcc
	v_lshrrev_b32_e32 v27, 16, v19
	v_cmp_ne_u32_e32 vcc, 2, v23
	v_lshlrev_b16_e32 v26, 8, v26
	v_cndmask_b32_e32 v27, 18, v27, vcc
	v_or_b32_sdwa v26, v27, v26 dst_sel:WORD_1 dst_unused:UNUSED_PAD src0_sel:BYTE_0 src1_sel:DWORD
	v_cmp_ne_u32_e32 vcc, 20, v23
	v_or_b32_sdwa v25, v25, v26 dst_sel:DWORD dst_unused:UNUSED_PAD src0_sel:WORD_0 src1_sel:DWORD
	v_cndmask_b32_e32 v26, 18, v22, vcc
	v_lshrrev_b32_e32 v27, 8, v22
	v_cmp_ne_u32_e32 vcc, 21, v23
	v_cndmask_b32_e32 v27, 18, v27, vcc
	v_lshlrev_b16_e32 v27, 8, v27
	v_or_b32_sdwa v26, v26, v27 dst_sel:DWORD dst_unused:UNUSED_PAD src0_sel:BYTE_0 src1_sel:DWORD
	v_lshrrev_b32_e32 v27, 24, v22
	v_cmp_ne_u32_e32 vcc, 23, v23
	v_cndmask_b32_e32 v27, 18, v27, vcc
	v_lshrrev_b32_e32 v40, 16, v22
	v_cmp_ne_u32_e32 vcc, 22, v23
	v_lshlrev_b16_e32 v27, 8, v27
	v_cndmask_b32_e32 v40, 18, v40, vcc
	v_or_b32_sdwa v27, v40, v27 dst_sel:WORD_1 dst_unused:UNUSED_PAD src0_sel:BYTE_0 src1_sel:DWORD
	v_cmp_ne_u32_e32 vcc, 16, v23
	v_or_b32_sdwa v26, v26, v27 dst_sel:DWORD dst_unused:UNUSED_PAD src0_sel:WORD_0 src1_sel:DWORD
	;; [unrolled: 16-line block ×5, first 2 shown]
	v_cndmask_b32_e32 v42, 18, v20, vcc
	v_lshrrev_b32_e32 v43, 8, v20
	v_cmp_ne_u32_e32 vcc, 5, v23
	v_cndmask_b32_e32 v43, 18, v43, vcc
	v_lshlrev_b16_e32 v43, 8, v43
	v_or_b32_sdwa v42, v42, v43 dst_sel:DWORD dst_unused:UNUSED_PAD src0_sel:BYTE_0 src1_sel:DWORD
	v_lshrrev_b32_e32 v43, 24, v20
	v_cmp_ne_u32_e32 vcc, 7, v23
	v_cndmask_b32_e32 v43, 18, v43, vcc
	v_lshrrev_b32_e32 v44, 16, v20
	v_cmp_ne_u32_e32 vcc, 6, v23
	v_and_b32_e32 v24, 0x40000, v16
	v_lshlrev_b16_e32 v43, 8, v43
	v_cndmask_b32_e32 v44, 18, v44, vcc
	v_or_b32_sdwa v43, v44, v43 dst_sel:WORD_1 dst_unused:UNUSED_PAD src0_sel:BYTE_0 src1_sel:DWORD
	v_cmp_eq_u32_e32 vcc, 0, v24
	v_bfe_u32 v24, v16, 18, 1
	v_or_b32_sdwa v42, v42, v43 dst_sel:DWORD dst_unused:UNUSED_PAD src0_sel:WORD_0 src1_sel:DWORD
	v_add_u32_e32 v23, v23, v24
	v_cndmask_b32_e32 v19, v25, v19, vcc
	v_cndmask_b32_e32 v20, v42, v20, vcc
	;; [unrolled: 1-line block ×6, first 2 shown]
	v_cmp_ne_u32_e32 vcc, 0, v23
	v_cndmask_b32_e32 v25, 19, v19, vcc
	v_lshrrev_b32_e32 v26, 8, v19
	v_cmp_ne_u32_e32 vcc, 1, v23
	v_cndmask_b32_e32 v26, 19, v26, vcc
	v_lshlrev_b16_e32 v26, 8, v26
	v_or_b32_sdwa v25, v25, v26 dst_sel:DWORD dst_unused:UNUSED_PAD src0_sel:BYTE_0 src1_sel:DWORD
	v_lshrrev_b32_e32 v26, 24, v19
	v_cmp_ne_u32_e32 vcc, 3, v23
	v_cndmask_b32_e32 v26, 19, v26, vcc
	v_lshrrev_b32_e32 v27, 16, v19
	v_cmp_ne_u32_e32 vcc, 2, v23
	v_lshlrev_b16_e32 v26, 8, v26
	v_cndmask_b32_e32 v27, 19, v27, vcc
	v_or_b32_sdwa v26, v27, v26 dst_sel:WORD_1 dst_unused:UNUSED_PAD src0_sel:BYTE_0 src1_sel:DWORD
	v_cmp_ne_u32_e32 vcc, 20, v23
	v_or_b32_sdwa v25, v25, v26 dst_sel:DWORD dst_unused:UNUSED_PAD src0_sel:WORD_0 src1_sel:DWORD
	v_cndmask_b32_e32 v26, 19, v22, vcc
	v_lshrrev_b32_e32 v27, 8, v22
	v_cmp_ne_u32_e32 vcc, 21, v23
	v_cndmask_b32_e32 v27, 19, v27, vcc
	v_lshlrev_b16_e32 v27, 8, v27
	v_or_b32_sdwa v26, v26, v27 dst_sel:DWORD dst_unused:UNUSED_PAD src0_sel:BYTE_0 src1_sel:DWORD
	v_lshrrev_b32_e32 v27, 24, v22
	v_cmp_ne_u32_e32 vcc, 23, v23
	v_cndmask_b32_e32 v27, 19, v27, vcc
	v_lshrrev_b32_e32 v40, 16, v22
	v_cmp_ne_u32_e32 vcc, 22, v23
	v_lshlrev_b16_e32 v27, 8, v27
	v_cndmask_b32_e32 v40, 19, v40, vcc
	v_or_b32_sdwa v27, v40, v27 dst_sel:WORD_1 dst_unused:UNUSED_PAD src0_sel:BYTE_0 src1_sel:DWORD
	v_cmp_ne_u32_e32 vcc, 16, v23
	v_or_b32_sdwa v26, v26, v27 dst_sel:DWORD dst_unused:UNUSED_PAD src0_sel:WORD_0 src1_sel:DWORD
	;; [unrolled: 16-line block ×5, first 2 shown]
	v_cndmask_b32_e32 v42, 19, v20, vcc
	v_lshrrev_b32_e32 v43, 8, v20
	v_cmp_ne_u32_e32 vcc, 5, v23
	v_cndmask_b32_e32 v43, 19, v43, vcc
	v_lshlrev_b16_e32 v43, 8, v43
	v_or_b32_sdwa v42, v42, v43 dst_sel:DWORD dst_unused:UNUSED_PAD src0_sel:BYTE_0 src1_sel:DWORD
	v_lshrrev_b32_e32 v43, 24, v20
	v_cmp_ne_u32_e32 vcc, 7, v23
	v_cndmask_b32_e32 v43, 19, v43, vcc
	v_lshrrev_b32_e32 v44, 16, v20
	v_cmp_ne_u32_e32 vcc, 6, v23
	v_and_b32_e32 v24, 0x80000, v16
	v_lshlrev_b16_e32 v43, 8, v43
	v_cndmask_b32_e32 v44, 19, v44, vcc
	v_or_b32_sdwa v43, v44, v43 dst_sel:WORD_1 dst_unused:UNUSED_PAD src0_sel:BYTE_0 src1_sel:DWORD
	v_cmp_eq_u32_e32 vcc, 0, v24
	v_bfe_u32 v24, v16, 19, 1
	v_or_b32_sdwa v42, v42, v43 dst_sel:DWORD dst_unused:UNUSED_PAD src0_sel:WORD_0 src1_sel:DWORD
	v_add_u32_e32 v23, v23, v24
	v_cndmask_b32_e32 v19, v25, v19, vcc
	v_cndmask_b32_e32 v20, v42, v20, vcc
	;; [unrolled: 1-line block ×6, first 2 shown]
	v_cmp_ne_u32_e32 vcc, 0, v23
	v_cndmask_b32_e32 v25, 20, v19, vcc
	v_lshrrev_b32_e32 v26, 8, v19
	v_cmp_ne_u32_e32 vcc, 1, v23
	v_cndmask_b32_e32 v26, 20, v26, vcc
	v_lshlrev_b16_e32 v26, 8, v26
	v_or_b32_sdwa v25, v25, v26 dst_sel:DWORD dst_unused:UNUSED_PAD src0_sel:BYTE_0 src1_sel:DWORD
	v_lshrrev_b32_e32 v26, 24, v19
	v_cmp_ne_u32_e32 vcc, 3, v23
	v_cndmask_b32_e32 v26, 20, v26, vcc
	v_lshrrev_b32_e32 v27, 16, v19
	v_cmp_ne_u32_e32 vcc, 2, v23
	v_lshlrev_b16_e32 v26, 8, v26
	v_cndmask_b32_e32 v27, 20, v27, vcc
	v_or_b32_sdwa v26, v27, v26 dst_sel:WORD_1 dst_unused:UNUSED_PAD src0_sel:BYTE_0 src1_sel:DWORD
	v_cmp_ne_u32_e32 vcc, 20, v23
	v_or_b32_sdwa v25, v25, v26 dst_sel:DWORD dst_unused:UNUSED_PAD src0_sel:WORD_0 src1_sel:DWORD
	v_cndmask_b32_e32 v26, 20, v22, vcc
	v_lshrrev_b32_e32 v27, 8, v22
	v_cmp_ne_u32_e32 vcc, 21, v23
	v_cndmask_b32_e32 v27, 20, v27, vcc
	v_lshlrev_b16_e32 v27, 8, v27
	v_or_b32_sdwa v26, v26, v27 dst_sel:DWORD dst_unused:UNUSED_PAD src0_sel:BYTE_0 src1_sel:DWORD
	v_lshrrev_b32_e32 v27, 24, v22
	v_cmp_ne_u32_e32 vcc, 23, v23
	v_cndmask_b32_e32 v27, 20, v27, vcc
	v_lshrrev_b32_e32 v40, 16, v22
	v_cmp_ne_u32_e32 vcc, 22, v23
	v_lshlrev_b16_e32 v27, 8, v27
	v_cndmask_b32_e32 v40, 20, v40, vcc
	v_or_b32_sdwa v27, v40, v27 dst_sel:WORD_1 dst_unused:UNUSED_PAD src0_sel:BYTE_0 src1_sel:DWORD
	v_cmp_ne_u32_e32 vcc, 16, v23
	v_or_b32_sdwa v26, v26, v27 dst_sel:DWORD dst_unused:UNUSED_PAD src0_sel:WORD_0 src1_sel:DWORD
	v_cndmask_b32_e32 v27, 20, v17, vcc
	v_lshrrev_b32_e32 v40, 8, v17
	v_cmp_ne_u32_e32 vcc, 17, v23
	v_cndmask_b32_e32 v40, 20, v40, vcc
	v_lshlrev_b16_e32 v40, 8, v40
	v_or_b32_sdwa v27, v27, v40 dst_sel:DWORD dst_unused:UNUSED_PAD src0_sel:BYTE_0 src1_sel:DWORD
	v_lshrrev_b32_e32 v40, 24, v17
	v_cmp_ne_u32_e32 vcc, 19, v23
	v_cndmask_b32_e32 v40, 20, v40, vcc
	v_lshrrev_b32_e32 v41, 16, v17
	v_cmp_ne_u32_e32 vcc, 18, v23
	v_lshlrev_b16_e32 v40, 8, v40
	v_cndmask_b32_e32 v41, 20, v41, vcc
	v_or_b32_sdwa v40, v41, v40 dst_sel:WORD_1 dst_unused:UNUSED_PAD src0_sel:BYTE_0 src1_sel:DWORD
	v_cmp_ne_u32_e32 vcc, 12, v23
	v_or_b32_sdwa v27, v27, v40 dst_sel:DWORD dst_unused:UNUSED_PAD src0_sel:WORD_0 src1_sel:DWORD
	v_cndmask_b32_e32 v40, 20, v21, vcc
	v_lshrrev_b32_e32 v41, 8, v21
	v_cmp_ne_u32_e32 vcc, 13, v23
	v_cndmask_b32_e32 v41, 20, v41, vcc
	v_lshlrev_b16_e32 v41, 8, v41
	v_or_b32_sdwa v40, v40, v41 dst_sel:DWORD dst_unused:UNUSED_PAD src0_sel:BYTE_0 src1_sel:DWORD
	v_lshrrev_b32_e32 v41, 24, v21
	v_cmp_ne_u32_e32 vcc, 15, v23
	v_cndmask_b32_e32 v41, 20, v41, vcc
	v_lshrrev_b32_e32 v42, 16, v21
	v_cmp_ne_u32_e32 vcc, 14, v23
	v_lshlrev_b16_e32 v41, 8, v41
	v_cndmask_b32_e32 v42, 20, v42, vcc
	v_or_b32_sdwa v41, v42, v41 dst_sel:WORD_1 dst_unused:UNUSED_PAD src0_sel:BYTE_0 src1_sel:DWORD
	v_cmp_ne_u32_e32 vcc, 8, v23
	v_or_b32_sdwa v40, v40, v41 dst_sel:DWORD dst_unused:UNUSED_PAD src0_sel:WORD_0 src1_sel:DWORD
	v_cndmask_b32_e32 v41, 20, v18, vcc
	v_lshrrev_b32_e32 v42, 8, v18
	v_cmp_ne_u32_e32 vcc, 9, v23
	v_cndmask_b32_e32 v42, 20, v42, vcc
	v_lshlrev_b16_e32 v42, 8, v42
	v_or_b32_sdwa v41, v41, v42 dst_sel:DWORD dst_unused:UNUSED_PAD src0_sel:BYTE_0 src1_sel:DWORD
	v_lshrrev_b32_e32 v42, 24, v18
	v_cmp_ne_u32_e32 vcc, 11, v23
	v_cndmask_b32_e32 v42, 20, v42, vcc
	v_lshrrev_b32_e32 v43, 16, v18
	v_cmp_ne_u32_e32 vcc, 10, v23
	v_lshlrev_b16_e32 v42, 8, v42
	v_cndmask_b32_e32 v43, 20, v43, vcc
	v_or_b32_sdwa v42, v43, v42 dst_sel:WORD_1 dst_unused:UNUSED_PAD src0_sel:BYTE_0 src1_sel:DWORD
	v_cmp_ne_u32_e32 vcc, 4, v23
	v_or_b32_sdwa v41, v41, v42 dst_sel:DWORD dst_unused:UNUSED_PAD src0_sel:WORD_0 src1_sel:DWORD
	v_cndmask_b32_e32 v42, 20, v20, vcc
	v_lshrrev_b32_e32 v43, 8, v20
	v_cmp_ne_u32_e32 vcc, 5, v23
	v_cndmask_b32_e32 v43, 20, v43, vcc
	v_lshlrev_b16_e32 v43, 8, v43
	v_or_b32_sdwa v42, v42, v43 dst_sel:DWORD dst_unused:UNUSED_PAD src0_sel:BYTE_0 src1_sel:DWORD
	v_lshrrev_b32_e32 v43, 24, v20
	v_cmp_ne_u32_e32 vcc, 7, v23
	v_cndmask_b32_e32 v43, 20, v43, vcc
	v_lshrrev_b32_e32 v44, 16, v20
	v_cmp_ne_u32_e32 vcc, 6, v23
	v_and_b32_e32 v24, 0x100000, v16
	v_lshlrev_b16_e32 v43, 8, v43
	v_cndmask_b32_e32 v44, 20, v44, vcc
	v_or_b32_sdwa v43, v44, v43 dst_sel:WORD_1 dst_unused:UNUSED_PAD src0_sel:BYTE_0 src1_sel:DWORD
	v_cmp_eq_u32_e32 vcc, 0, v24
	v_bfe_u32 v24, v16, 20, 1
	v_or_b32_sdwa v42, v42, v43 dst_sel:DWORD dst_unused:UNUSED_PAD src0_sel:WORD_0 src1_sel:DWORD
	v_add_u32_e32 v23, v23, v24
	v_cndmask_b32_e32 v19, v25, v19, vcc
	v_cndmask_b32_e32 v20, v42, v20, vcc
	;; [unrolled: 1-line block ×6, first 2 shown]
	v_cmp_ne_u32_e32 vcc, 0, v23
	v_cndmask_b32_e32 v25, 21, v19, vcc
	v_lshrrev_b32_e32 v26, 8, v19
	v_cmp_ne_u32_e32 vcc, 1, v23
	v_cndmask_b32_e32 v26, 21, v26, vcc
	v_lshlrev_b16_e32 v26, 8, v26
	v_or_b32_sdwa v25, v25, v26 dst_sel:DWORD dst_unused:UNUSED_PAD src0_sel:BYTE_0 src1_sel:DWORD
	v_lshrrev_b32_e32 v26, 24, v19
	v_cmp_ne_u32_e32 vcc, 3, v23
	v_cndmask_b32_e32 v26, 21, v26, vcc
	v_lshrrev_b32_e32 v27, 16, v19
	v_cmp_ne_u32_e32 vcc, 2, v23
	v_lshlrev_b16_e32 v26, 8, v26
	v_cndmask_b32_e32 v27, 21, v27, vcc
	v_or_b32_sdwa v26, v27, v26 dst_sel:WORD_1 dst_unused:UNUSED_PAD src0_sel:BYTE_0 src1_sel:DWORD
	v_cmp_ne_u32_e32 vcc, 20, v23
	v_or_b32_sdwa v25, v25, v26 dst_sel:DWORD dst_unused:UNUSED_PAD src0_sel:WORD_0 src1_sel:DWORD
	v_cndmask_b32_e32 v26, 21, v22, vcc
	v_lshrrev_b32_e32 v27, 8, v22
	v_cmp_ne_u32_e32 vcc, 21, v23
	v_cndmask_b32_e32 v27, 21, v27, vcc
	v_lshlrev_b16_e32 v27, 8, v27
	v_or_b32_sdwa v26, v26, v27 dst_sel:DWORD dst_unused:UNUSED_PAD src0_sel:BYTE_0 src1_sel:DWORD
	v_lshrrev_b32_e32 v27, 24, v22
	v_cmp_ne_u32_e32 vcc, 23, v23
	v_cndmask_b32_e32 v27, 21, v27, vcc
	v_lshrrev_b32_e32 v40, 16, v22
	v_cmp_ne_u32_e32 vcc, 22, v23
	v_lshlrev_b16_e32 v27, 8, v27
	v_cndmask_b32_e32 v40, 21, v40, vcc
	v_or_b32_sdwa v27, v40, v27 dst_sel:WORD_1 dst_unused:UNUSED_PAD src0_sel:BYTE_0 src1_sel:DWORD
	v_cmp_ne_u32_e32 vcc, 16, v23
	v_or_b32_sdwa v26, v26, v27 dst_sel:DWORD dst_unused:UNUSED_PAD src0_sel:WORD_0 src1_sel:DWORD
	;; [unrolled: 16-line block ×5, first 2 shown]
	v_cndmask_b32_e32 v42, 21, v20, vcc
	v_lshrrev_b32_e32 v43, 8, v20
	v_cmp_ne_u32_e32 vcc, 5, v23
	v_cndmask_b32_e32 v43, 21, v43, vcc
	v_lshlrev_b16_e32 v43, 8, v43
	v_or_b32_sdwa v42, v42, v43 dst_sel:DWORD dst_unused:UNUSED_PAD src0_sel:BYTE_0 src1_sel:DWORD
	v_lshrrev_b32_e32 v43, 24, v20
	v_cmp_ne_u32_e32 vcc, 7, v23
	v_cndmask_b32_e32 v43, 21, v43, vcc
	v_lshrrev_b32_e32 v44, 16, v20
	v_cmp_ne_u32_e32 vcc, 6, v23
	v_and_b32_e32 v24, 0x200000, v16
	v_lshlrev_b16_e32 v43, 8, v43
	v_cndmask_b32_e32 v44, 21, v44, vcc
	v_or_b32_sdwa v43, v44, v43 dst_sel:WORD_1 dst_unused:UNUSED_PAD src0_sel:BYTE_0 src1_sel:DWORD
	v_cmp_eq_u32_e32 vcc, 0, v24
	v_bfe_u32 v24, v16, 21, 1
	v_or_b32_sdwa v42, v42, v43 dst_sel:DWORD dst_unused:UNUSED_PAD src0_sel:WORD_0 src1_sel:DWORD
	v_add_u32_e32 v23, v23, v24
	v_cndmask_b32_e32 v19, v25, v19, vcc
	v_cndmask_b32_e32 v20, v42, v20, vcc
	;; [unrolled: 1-line block ×6, first 2 shown]
	v_cmp_ne_u32_e32 vcc, 0, v23
	v_cndmask_b32_e32 v25, 22, v19, vcc
	v_lshrrev_b32_e32 v26, 8, v19
	v_cmp_ne_u32_e32 vcc, 1, v23
	v_cndmask_b32_e32 v26, 22, v26, vcc
	v_lshlrev_b16_e32 v26, 8, v26
	v_or_b32_sdwa v25, v25, v26 dst_sel:DWORD dst_unused:UNUSED_PAD src0_sel:BYTE_0 src1_sel:DWORD
	v_lshrrev_b32_e32 v26, 24, v19
	v_cmp_ne_u32_e32 vcc, 3, v23
	v_cndmask_b32_e32 v26, 22, v26, vcc
	v_lshrrev_b32_e32 v27, 16, v19
	v_cmp_ne_u32_e32 vcc, 2, v23
	v_lshlrev_b16_e32 v26, 8, v26
	v_cndmask_b32_e32 v27, 22, v27, vcc
	v_or_b32_sdwa v26, v27, v26 dst_sel:WORD_1 dst_unused:UNUSED_PAD src0_sel:BYTE_0 src1_sel:DWORD
	v_cmp_ne_u32_e32 vcc, 20, v23
	v_or_b32_sdwa v25, v25, v26 dst_sel:DWORD dst_unused:UNUSED_PAD src0_sel:WORD_0 src1_sel:DWORD
	v_cndmask_b32_e32 v26, 22, v22, vcc
	v_lshrrev_b32_e32 v27, 8, v22
	v_cmp_ne_u32_e32 vcc, 21, v23
	v_cndmask_b32_e32 v27, 22, v27, vcc
	v_lshlrev_b16_e32 v27, 8, v27
	v_or_b32_sdwa v26, v26, v27 dst_sel:DWORD dst_unused:UNUSED_PAD src0_sel:BYTE_0 src1_sel:DWORD
	v_lshrrev_b32_e32 v27, 24, v22
	v_cmp_ne_u32_e32 vcc, 23, v23
	v_cndmask_b32_e32 v27, 22, v27, vcc
	v_lshrrev_b32_e32 v40, 16, v22
	v_cmp_ne_u32_e32 vcc, 22, v23
	v_lshlrev_b16_e32 v27, 8, v27
	v_cndmask_b32_e32 v40, 22, v40, vcc
	v_or_b32_sdwa v27, v40, v27 dst_sel:WORD_1 dst_unused:UNUSED_PAD src0_sel:BYTE_0 src1_sel:DWORD
	v_cmp_ne_u32_e32 vcc, 16, v23
	v_or_b32_sdwa v26, v26, v27 dst_sel:DWORD dst_unused:UNUSED_PAD src0_sel:WORD_0 src1_sel:DWORD
	;; [unrolled: 16-line block ×5, first 2 shown]
	v_cndmask_b32_e32 v42, 22, v20, vcc
	v_lshrrev_b32_e32 v43, 8, v20
	v_cmp_ne_u32_e32 vcc, 5, v23
	v_cndmask_b32_e32 v43, 22, v43, vcc
	v_lshlrev_b16_e32 v43, 8, v43
	v_or_b32_sdwa v42, v42, v43 dst_sel:DWORD dst_unused:UNUSED_PAD src0_sel:BYTE_0 src1_sel:DWORD
	v_lshrrev_b32_e32 v43, 24, v20
	v_cmp_ne_u32_e32 vcc, 7, v23
	v_and_b32_e32 v24, 0x400000, v16
	v_cndmask_b32_e32 v43, 22, v43, vcc
	v_lshrrev_b32_e32 v44, 16, v20
	v_cmp_ne_u32_e32 vcc, 6, v23
	v_lshlrev_b16_e32 v43, 8, v43
	v_cndmask_b32_e32 v44, 22, v44, vcc
	v_cmp_eq_u32_e32 vcc, 0, v24
	v_or_b32_sdwa v43, v44, v43 dst_sel:WORD_1 dst_unused:UNUSED_PAD src0_sel:BYTE_0 src1_sel:DWORD
	v_cndmask_b32_e32 v19, v25, v19, vcc
	v_cndmask_b32_e32 v25, v27, v17, vcc
	v_bfe_u32 v17, v16, 22, 1
	v_or_b32_sdwa v42, v42, v43 dst_sel:DWORD dst_unused:UNUSED_PAD src0_sel:WORD_0 src1_sel:DWORD
	v_add_u32_e32 v27, v23, v17
	v_cndmask_b32_e32 v20, v42, v20, vcc
	v_cndmask_b32_e32 v24, v41, v18, vcc
	;; [unrolled: 1-line block ×4, first 2 shown]
	v_cmp_ne_u32_e32 vcc, 0, v27
	v_cndmask_b32_e32 v18, 23, v19, vcc
	v_lshrrev_b32_e32 v22, 8, v19
	v_cmp_ne_u32_e32 vcc, 1, v27
	v_cndmask_b32_e32 v22, 23, v22, vcc
	v_lshlrev_b16_e32 v22, 8, v22
	v_or_b32_sdwa v18, v18, v22 dst_sel:DWORD dst_unused:UNUSED_PAD src0_sel:BYTE_0 src1_sel:DWORD
	v_lshrrev_b32_e32 v22, 24, v19
	v_cmp_ne_u32_e32 vcc, 3, v27
	v_cndmask_b32_e32 v22, 23, v22, vcc
	v_lshrrev_b32_e32 v23, 16, v19
	v_cmp_ne_u32_e32 vcc, 2, v27
	v_lshlrev_b16_e32 v22, 8, v22
	v_cndmask_b32_e32 v23, 23, v23, vcc
	v_or_b32_sdwa v22, v23, v22 dst_sel:WORD_1 dst_unused:UNUSED_PAD src0_sel:BYTE_0 src1_sel:DWORD
	v_cmp_ne_u32_e32 vcc, 20, v27
	v_or_b32_sdwa v18, v18, v22 dst_sel:DWORD dst_unused:UNUSED_PAD src0_sel:WORD_0 src1_sel:DWORD
	v_cndmask_b32_e32 v22, 23, v26, vcc
	v_lshrrev_b32_e32 v23, 8, v26
	v_cmp_ne_u32_e32 vcc, 21, v27
	v_cndmask_b32_e32 v23, 23, v23, vcc
	v_lshlrev_b16_e32 v23, 8, v23
	v_or_b32_sdwa v22, v22, v23 dst_sel:DWORD dst_unused:UNUSED_PAD src0_sel:BYTE_0 src1_sel:DWORD
	v_lshrrev_b32_e32 v23, 24, v26
	v_cmp_ne_u32_e32 vcc, 23, v27
	v_cndmask_b32_e32 v23, 23, v23, vcc
	v_lshrrev_b32_e32 v40, 16, v26
	v_cmp_ne_u32_e32 vcc, 22, v27
	v_lshlrev_b16_e32 v23, 8, v23
	v_cndmask_b32_e32 v40, 23, v40, vcc
	v_or_b32_sdwa v23, v40, v23 dst_sel:WORD_1 dst_unused:UNUSED_PAD src0_sel:BYTE_0 src1_sel:DWORD
	v_cmp_ne_u32_e32 vcc, 16, v27
	v_or_b32_sdwa v40, v22, v23 dst_sel:DWORD dst_unused:UNUSED_PAD src0_sel:WORD_0 src1_sel:DWORD
	;; [unrolled: 16-line block ×5, first 2 shown]
	v_cndmask_b32_e32 v42, 23, v20, vcc
	v_lshrrev_b32_e32 v43, 8, v20
	v_cmp_ne_u32_e32 vcc, 5, v27
	v_cndmask_b32_e32 v43, 23, v43, vcc
	v_lshlrev_b16_e32 v43, 8, v43
	v_or_b32_sdwa v42, v42, v43 dst_sel:DWORD dst_unused:UNUSED_PAD src0_sel:BYTE_0 src1_sel:DWORD
	v_lshrrev_b32_e32 v43, 24, v20
	v_cmp_ne_u32_e32 vcc, 7, v27
	v_cndmask_b32_e32 v43, 23, v43, vcc
	v_lshrrev_b32_e32 v44, 16, v20
	v_cmp_ne_u32_e32 vcc, 6, v27
	v_lshlrev_b16_e32 v43, 8, v43
	v_cndmask_b32_e32 v44, 23, v44, vcc
	v_and_b32_e32 v17, 0x800000, v16
	v_or_b32_sdwa v43, v44, v43 dst_sel:WORD_1 dst_unused:UNUSED_PAD src0_sel:BYTE_0 src1_sel:DWORD
	v_or_b32_sdwa v42, v42, v43 dst_sel:DWORD dst_unused:UNUSED_PAD src0_sel:WORD_0 src1_sel:DWORD
	v_cmp_eq_u32_e32 vcc, 0, v17
	v_cndmask_b32_e32 v17, v18, v19, vcc
	v_cndmask_b32_e32 v18, v42, v20, vcc
	v_lshrrev_b64 v[19:20], 24, v[17:18]
	v_cndmask_b32_e32 v20, v23, v24, vcc
	v_cndmask_b32_e32 v21, v22, v21, vcc
	v_lshrrev_b64 v[22:23], 24, v[20:21]
	v_cndmask_b32_e32 v23, v41, v25, vcc
	v_cndmask_b32_e32 v24, v40, v26, vcc
	v_lshrrev_b64 v[25:26], 24, v[23:24]
	v_bfe_u32 v16, v16, 23, 1
	v_add_u32_e32 v26, v27, v16
	v_lshrrev_b32_e32 v69, 16, v17
	v_lshrrev_b32_e32 v66, 8, v17
	;; [unrolled: 1-line block ×15, first 2 shown]
	v_cmp_ne_u32_e32 vcc, 0, v26
	s_and_saveexec_b64 s[4:5], vcc
	s_cbranch_execz .LBB2_318
; %bb.289:
	v_add_f64 v[42:43], v[34:35], v[34:35]
	s_mov_b32 s8, 0
	s_mov_b32 s10, 0x55555555
	v_mov_b32_e32 v27, 0
	s_mov_b64 s[6:7], 0
	s_mov_b32 s9, 0x3fd00000
	s_mov_b32 s11, 0x3fd55555
	v_mov_b32_e32 v16, 0xd0
	v_mul_f64 v[40:41], v[42:43], 0.5
	v_fma_f64 v[46:47], v[42:43], 0.5, 0
	v_mov_b32_e32 v62, 3
	s_mov_b64 s[12:13], 0
	v_fma_f64 v[44:45], v[40:41], 0.5, v[6:7]
	v_fma_f64 v[46:47], v[42:43], 0.5, v[46:47]
	v_fma_f64 v[48:49], v[40:41], v[44:45], 0
	v_fma_f64 v[42:43], v[42:43], 0.5, v[46:47]
	v_fma_f64 v[48:49], v[40:41], v[44:45], v[48:49]
	v_fma_f64 v[44:45], v[40:41], v[44:45], v[48:49]
	s_branch .LBB2_292
.LBB2_290:                              ;   in Loop: Header=BB2_292 Depth=1
	s_or_b64 exec, exec, s[16:17]
	v_mov_b32_e32 v68, v63
	v_mov_b32_e32 v63, v65
.LBB2_291:                              ;   in Loop: Header=BB2_292 Depth=1
	s_or_b64 exec, exec, s[14:15]
	v_lshl_add_u32 v65, v63, 3, v16
	buffer_load_dword v64, v65, s[0:3], 0 offen offset:68
	buffer_load_dword v63, v65, s[0:3], 0 offen offset:64
	v_lshl_add_u32 v68, v68, 3, v16
	buffer_load_dword v85, v65, s[0:3], 0 offen offset:4
	buffer_load_dword v87, v68, s[0:3], 0 offen offset:68
	;; [unrolled: 1-line block ×3, first 2 shown]
	buffer_load_dword v84, v65, s[0:3], 0 offen
	buffer_load_dword v88, v68, s[0:3], 0 offen
	buffer_load_dword v89, v68, s[0:3], 0 offen offset:4
	s_waitcnt vmcnt(20)
	v_add_f64 v[46:47], v[46:47], v[52:53]
	s_waitcnt vmcnt(12)
	v_add_f64 v[52:53], v[54:55], v[60:61]
	s_add_u32 s12, s12, 1
	s_addc_u32 s13, s13, 0
	v_cmp_eq_u64_e32 vcc, s[12:13], v[26:27]
	ds_write2_b64 v67, v[34:35], v[34:35] offset0:20 offset1:22
	s_or_b64 s[6:7], vcc, s[6:7]
	v_add_f64 v[46:47], v[46:47], v[50:51]
	s_waitcnt vmcnt(10)
	v_add_f64 v[50:51], v[52:53], v[58:59]
	v_add_f64 v[46:47], v[46:47], v[48:49]
	s_waitcnt vmcnt(8)
	v_add_f64 v[48:49], v[50:51], v[56:57]
	v_fma_f64 v[46:47], v[46:47], s[8:9], -v[0:1]
	v_fma_f64 v[48:49], v[48:49], s[8:9], -v[4:5]
	v_mul_f64 v[46:47], v[32:33], v[46:47]
	s_waitcnt vmcnt(3)
	v_add_f64 v[52:53], v[86:87], -v[4:5]
	v_add_f64 v[50:51], v[63:64], -v[4:5]
	s_waitcnt vmcnt(2)
	v_add_f64 v[54:55], v[84:85], -v[0:1]
	s_waitcnt vmcnt(0)
	v_add_f64 v[56:57], v[88:89], -v[0:1]
	v_mul_f64 v[58:59], v[30:31], v[52:53]
	v_mul_f64 v[50:51], v[30:31], v[50:51]
	v_fma_f64 v[60:61], -v[32:33], v[54:55], v[46:47]
	v_mul_f64 v[84:85], v[32:33], v[56:57]
	v_fma_f64 v[86:87], v[32:33], v[56:57], v[46:47]
	v_fma_f64 v[56:57], v[32:33], v[56:57], -v[46:47]
	v_fma_f64 v[90:91], v[32:33], v[54:55], v[46:47]
	v_fma_f64 v[88:89], v[30:31], v[48:49], v[58:59]
	;; [unrolled: 1-line block ×4, first 2 shown]
	v_fma_f64 v[92:93], v[32:33], v[54:55], -v[84:85]
	v_fma_f64 v[86:87], v[36:37], v[86:87], v[0:1]
	ds_write2_b64 v67, v[58:59], v[50:51] offset0:10 offset1:12
	v_mul_f64 v[60:61], v[60:61], v[63:64]
	v_fma_f64 v[63:64], v[38:39], v[63:64], v[4:5]
	v_fma_f64 v[86:87], v[40:41], v[86:87], 0
	;; [unrolled: 1-line block ×6, first 2 shown]
	v_mul_f64 v[54:55], v[32:33], v[54:55]
	v_fma_f64 v[56:57], v[92:93], v[52:53], v[56:57]
	v_fma_f64 v[60:61], v[40:41], v[60:61], 0
	;; [unrolled: 1-line block ×5, first 2 shown]
	ds_write2_b64 v67, v[84:85], v[54:55] offset1:2
	v_mul_f64 v[56:57], v[56:57], 0.5
	v_fma_f64 v[60:61], v[40:41], v[63:64], v[60:61]
	v_fma_f64 v[63:64], v[40:41], v[90:91], v[86:87]
	v_mul_f64 v[56:57], v[56:57], s[10:11]
	v_fma_f64 v[52:53], v[40:41], v[52:53], v[60:61]
	v_fma_f64 v[60:61], v[42:43], v[56:57], 0
	;; [unrolled: 1-line block ×9, first 2 shown]
	s_andn2_b64 exec, exec, s[6:7]
	s_cbranch_execz .LBB2_317
.LBB2_292:                              ; =>This Inner Loop Header: Depth=1
	s_cmp_eq_u32 s12, 1
	s_cselect_b64 vcc, -1, 0
	s_cmp_eq_u32 s12, 2
	v_cndmask_b32_e32 v46, v17, v66, vcc
	s_cselect_b64 vcc, -1, 0
	s_cmp_eq_u32 s12, 3
	v_cndmask_b32_e32 v46, v46, v69, vcc
	;; [unrolled: 3-line block ×22, first 2 shown]
	s_cselect_b64 vcc, -1, 0
	v_cndmask_b32_e32 v68, v46, v82, vcc
	v_bfe_u32 v63, v68, 2, 6
	v_cmp_lt_i32_e32 vcc, 1, v63
                                        ; implicit-def: $vgpr77
                                        ; implicit-def: $vgpr54
                                        ; implicit-def: $vgpr64
                                        ; implicit-def: $vgpr55
                                        ; implicit-def: $vgpr65
                                        ; implicit-def: $vgpr56
                                        ; implicit-def: $vgpr57
	s_and_saveexec_b64 s[14:15], vcc
	s_xor_b64 s[14:15], exec, s[14:15]
	s_cbranch_execz .LBB2_304
; %bb.293:                              ;   in Loop: Header=BB2_292 Depth=1
	v_cmp_lt_i32_e32 vcc, 2, v63
                                        ; implicit-def: $vgpr77
                                        ; implicit-def: $vgpr54
                                        ; implicit-def: $vgpr64
                                        ; implicit-def: $vgpr55
                                        ; implicit-def: $vgpr65
                                        ; implicit-def: $vgpr56
                                        ; implicit-def: $vgpr57
	s_and_saveexec_b64 s[16:17], vcc
	s_xor_b64 s[16:17], exec, s[16:17]
	s_cbranch_execz .LBB2_301
; %bb.294:                              ;   in Loop: Header=BB2_292 Depth=1
	;; [unrolled: 12-line block ×3, first 2 shown]
	v_cmp_ne_u32_e32 vcc, 4, v63
	s_and_saveexec_b64 s[20:21], vcc
	s_xor_b64 s[20:21], exec, s[20:21]
	s_or_saveexec_b64 s[20:21], s[20:21]
	v_mov_b32_e32 v63, 4
	v_mov_b32_e32 v65, 6
	;; [unrolled: 1-line block ×8, first 2 shown]
	s_xor_b64 exec, exec, s[20:21]
; %bb.296:                              ;   in Loop: Header=BB2_292 Depth=1
	v_mov_b32_e32 v63, 0
	v_mov_b32_e32 v65, 1
	;; [unrolled: 1-line block ×8, first 2 shown]
; %bb.297:                              ;   in Loop: Header=BB2_292 Depth=1
	s_or_b64 exec, exec, s[20:21]
.LBB2_298:                              ;   in Loop: Header=BB2_292 Depth=1
	s_andn2_saveexec_b64 s[18:19], s[18:19]
; %bb.299:                              ;   in Loop: Header=BB2_292 Depth=1
	v_mov_b32_e32 v63, 2
	v_mov_b32_e32 v65, 3
	;; [unrolled: 1-line block ×8, first 2 shown]
; %bb.300:                              ;   in Loop: Header=BB2_292 Depth=1
	s_or_b64 exec, exec, s[18:19]
.LBB2_301:                              ;   in Loop: Header=BB2_292 Depth=1
	s_andn2_saveexec_b64 s[16:17], s[16:17]
; %bb.302:                              ;   in Loop: Header=BB2_292 Depth=1
	v_mov_b32_e32 v63, 0
	v_mov_b32_e32 v65, 4
	;; [unrolled: 1-line block ×8, first 2 shown]
; %bb.303:                              ;   in Loop: Header=BB2_292 Depth=1
	s_or_b64 exec, exec, s[16:17]
.LBB2_304:                              ;   in Loop: Header=BB2_292 Depth=1
	s_andn2_saveexec_b64 s[14:15], s[14:15]
	s_cbranch_execz .LBB2_308
; %bb.305:                              ;   in Loop: Header=BB2_292 Depth=1
	v_cmp_lt_i32_e32 vcc, 0, v63
	v_mov_b32_e32 v65, 2
	v_mov_b32_e32 v64, 6
	;; [unrolled: 1-line block ×7, first 2 shown]
	s_and_saveexec_b64 s[16:17], vcc
; %bb.306:                              ;   in Loop: Header=BB2_292 Depth=1
	v_mov_b32_e32 v63, 1
	v_mov_b32_e32 v65, 5
	;; [unrolled: 1-line block ×8, first 2 shown]
; %bb.307:                              ;   in Loop: Header=BB2_292 Depth=1
	s_or_b64 exec, exec, s[16:17]
.LBB2_308:                              ;   in Loop: Header=BB2_292 Depth=1
	s_or_b64 exec, exec, s[14:15]
	v_lshl_add_u32 v84, v63, 3, v16
	buffer_load_dword v46, v57, s[0:3], 0 offen
	buffer_load_dword v47, v57, s[0:3], 0 offen offset:4
	buffer_load_dword v52, v56, s[0:3], 0 offen
	buffer_load_dword v53, v56, s[0:3], 0 offen offset:4
	;; [unrolled: 2-line block ×4, first 2 shown]
	v_lshl_add_u32 v85, v65, 3, v16
	v_lshl_add_u32 v86, v64, 3, v16
	;; [unrolled: 1-line block ×3, first 2 shown]
	buffer_load_dword v54, v84, s[0:3], 0 offen offset:64
	buffer_load_dword v55, v84, s[0:3], 0 offen offset:68
	;; [unrolled: 1-line block ×8, first 2 shown]
	v_and_b32_sdwa v84, v68, v62 dst_sel:DWORD dst_unused:UNUSED_PAD src0_sel:BYTE_0 src1_sel:DWORD
	v_cmp_lt_i32_e32 vcc, 1, v84
                                        ; implicit-def: $vgpr68
	s_and_saveexec_b64 s[14:15], vcc
	s_xor_b64 s[14:15], exec, s[14:15]
	s_cbranch_execz .LBB2_314
; %bb.309:                              ;   in Loop: Header=BB2_292 Depth=1
	v_cmp_lt_i32_e32 vcc, 2, v84
	s_and_saveexec_b64 s[16:17], vcc
	s_xor_b64 s[16:17], exec, s[16:17]
; %bb.310:                              ;   in Loop: Header=BB2_292 Depth=1
                                        ; implicit-def: $vgpr64
; %bb.311:                              ;   in Loop: Header=BB2_292 Depth=1
	s_or_saveexec_b64 s[16:17], s[16:17]
	v_mov_b32_e32 v68, v77
	s_xor_b64 exec, exec, s[16:17]
; %bb.312:                              ;   in Loop: Header=BB2_292 Depth=1
	v_mov_b32_e32 v68, v64
	v_mov_b32_e32 v63, v77
; %bb.313:                              ;   in Loop: Header=BB2_292 Depth=1
	s_or_b64 exec, exec, s[16:17]
                                        ; implicit-def: $vgpr65
                                        ; implicit-def: $vgpr64
                                        ; implicit-def: $vgpr84
.LBB2_314:                              ;   in Loop: Header=BB2_292 Depth=1
	s_andn2_saveexec_b64 s[14:15], s[14:15]
	s_cbranch_execz .LBB2_291
; %bb.315:                              ;   in Loop: Header=BB2_292 Depth=1
	v_cmp_eq_u32_e32 vcc, 1, v84
	s_and_saveexec_b64 s[16:17], vcc
	s_cbranch_execz .LBB2_290
; %bb.316:                              ;   in Loop: Header=BB2_292 Depth=1
	v_mov_b32_e32 v63, v65
	v_mov_b32_e32 v65, v64
	s_branch .LBB2_290
.LBB2_317:
	s_or_b64 exec, exec, s[6:7]
	v_mul_f64 v[26:27], v[30:31], v[48:49]
	ds_write2_b64 v67, v[46:47], v[26:27] offset0:1 offset1:11
	ds_write_b64 v67, v[34:35] offset:168
.LBB2_318:
	s_or_b64 exec, exec, s[4:5]
	buffer_load_dword v27, off, s[0:3], 0
	s_waitcnt vmcnt(0)
	v_and_b32_e32 v93, 1, v27
	v_bfe_u32 v16, v27, 1, 1
	v_bfe_u32 v26, v27, 2, 1
	v_add_u32_e32 v92, v16, v93
	v_bfe_u32 v34, v27, 3, 1
	v_add_u32_e32 v91, v92, v26
	;; [unrolled: 2-line block ×21, first 2 shown]
	v_add_u32_e32 v26, v34, v63
	v_bfe_u32 v16, v27, 23, 1
	v_add_u32_e32 v16, v26, v16
	v_cmp_ne_u32_e32 vcc, 0, v16
	s_and_saveexec_b64 s[4:5], vcc
	s_cbranch_execz .LBB2_348
; %bb.319:
	s_mov_b32 s6, 0xc0c0004
	v_perm_b32 v19, v69, v19, s6
	v_perm_b32 v17, v17, v66, s6
	v_lshlrev_b32_e32 v19, 16, v19
	v_lshlrev_b16_e32 v66, 8, v66
	v_or_b32_e32 v17, v17, v19
	v_or_b32_e32 v19, v66, v19
	v_cmp_eq_u32_e32 vcc, 0, v93
	v_cndmask_b32_e32 v17, v19, v17, vcc
	v_perm_b32 v82, v73, v82, s6
	v_perm_b32 v25, v72, v25, s6
	;; [unrolled: 1-line block ×4, first 2 shown]
	v_and_b32_e32 v66, 0xff, v70
	v_and_b32_e32 v70, 0xff, v71
	v_and_b32_e32 v71, 0xff, v72
	v_and_b32_e32 v72, 0xff, v73
	v_lshrrev_b32_e32 v73, 8, v17
	v_cndmask_b32_e32 v73, 1, v73, vcc
	v_cndmask_b32_e64 v19, v17, 1, vcc
	v_lshlrev_b16_e32 v73, 8, v73
	v_or_b32_sdwa v19, v19, v73 dst_sel:DWORD dst_unused:UNUSED_PAD src0_sel:BYTE_0 src1_sel:DWORD
	v_lshrrev_b32_e32 v73, 24, v17
	v_cmp_ne_u32_e32 vcc, 3, v93
	v_cndmask_b32_e32 v73, 1, v73, vcc
	v_lshrrev_b32_e32 v100, 16, v17
	v_cmp_ne_u32_e32 vcc, 2, v93
	v_perm_b32 v24, v24, v83, s6
	v_perm_b32 v21, v21, v80, s6
	v_lshlrev_b16_e32 v73, 8, v73
	v_cndmask_b32_e32 v100, 1, v100, vcc
	v_cmp_ne_u32_e32 vcc, 20, v93
	v_lshl_or_b32 v83, v82, 16, v24
	v_lshl_or_b32 v80, v79, 16, v21
	v_lshrrev_b32_e32 v69, 8, v79
	v_lshrrev_b32_e32 v79, 8, v82
	;; [unrolled: 1-line block ×3, first 2 shown]
	v_or_b32_sdwa v73, v100, v73 dst_sel:WORD_1 dst_unused:UNUSED_PAD src0_sel:BYTE_0 src1_sel:DWORD
	v_cndmask_b32_e32 v24, 1, v24, vcc
	v_cmp_ne_u32_e32 vcc, 21, v93
	v_or_b32_sdwa v19, v19, v73 dst_sel:DWORD dst_unused:UNUSED_PAD src0_sel:WORD_0 src1_sel:DWORD
	v_cndmask_b32_e32 v73, 1, v82, vcc
	v_cmp_ne_u32_e32 vcc, 22, v93
	v_lshlrev_b16_e32 v73, 8, v73
	v_cndmask_b32_e32 v72, 1, v72, vcc
	v_cmp_ne_u32_e32 vcc, 23, v93
	v_lshlrev_b16_e32 v81, 8, v81
	v_or_b32_sdwa v24, v24, v73 dst_sel:DWORD dst_unused:UNUSED_PAD src0_sel:BYTE_0 src1_sel:DWORD
	v_cndmask_b32_e32 v73, 1, v79, vcc
	v_or_b32_sdwa v23, v23, v81 dst_sel:DWORD dst_unused:UNUSED_PAD src0_sel:BYTE_0 src1_sel:DWORD
	v_lshlrev_b16_e32 v73, 8, v73
	v_and_b32_e32 v81, 0xffff, v23
	v_or_b32_sdwa v72, v72, v73 dst_sel:WORD_1 dst_unused:UNUSED_PAD src0_sel:DWORD src1_sel:DWORD
	v_cmp_ne_u32_e32 vcc, 16, v93
	v_or_b32_sdwa v24, v24, v72 dst_sel:DWORD dst_unused:UNUSED_PAD src0_sel:WORD_0 src1_sel:DWORD
	v_cndmask_b32_e32 v23, 1, v23, vcc
	v_lshrrev_b32_e32 v72, 8, v81
	v_cmp_ne_u32_e32 vcc, 17, v93
	v_cndmask_b32_e32 v72, 1, v72, vcc
	v_cmp_ne_u32_e32 vcc, 18, v93
	v_lshl_or_b32 v98, v25, 16, v81
	v_cndmask_b32_e32 v71, 1, v71, vcc
	v_lshrrev_b32_e32 v25, 8, v25
	v_cmp_ne_u32_e32 vcc, 19, v93
	v_cndmask_b32_e32 v25, 1, v25, vcc
	v_lshlrev_b16_e32 v72, 8, v72
	v_lshlrev_b16_e32 v25, 8, v25
	v_cmp_ne_u32_e32 vcc, 12, v93
	v_perm_b32 v18, v18, v76, s6
	v_lshrrev_b32_e32 v76, 8, v21
	v_or_b32_sdwa v23, v23, v72 dst_sel:DWORD dst_unused:UNUSED_PAD src0_sel:BYTE_0 src1_sel:DWORD
	v_or_b32_sdwa v25, v71, v25 dst_sel:WORD_1 dst_unused:UNUSED_PAD src0_sel:DWORD src1_sel:DWORD
	v_cndmask_b32_e32 v21, 1, v21, vcc
	v_cmp_ne_u32_e32 vcc, 13, v93
	v_or_b32_sdwa v23, v23, v25 dst_sel:DWORD dst_unused:UNUSED_PAD src0_sel:WORD_0 src1_sel:DWORD
	v_cndmask_b32_e32 v25, 1, v76, vcc
	v_lshlrev_b16_e32 v25, 8, v25
	v_cmp_ne_u32_e32 vcc, 14, v93
	v_or_b32_sdwa v21, v21, v25 dst_sel:DWORD dst_unused:UNUSED_PAD src0_sel:BYTE_0 src1_sel:DWORD
	v_cndmask_b32_e32 v25, 1, v70, vcc
	v_cmp_ne_u32_e32 vcc, 15, v93
	v_lshlrev_b16_e32 v78, 8, v78
	v_cndmask_b32_e32 v69, 1, v69, vcc
	v_or_b32_sdwa v20, v20, v78 dst_sel:DWORD dst_unused:UNUSED_PAD src0_sel:BYTE_0 src1_sel:DWORD
	v_lshlrev_b16_e32 v69, 8, v69
	v_and_b32_e32 v78, 0xffff, v20
	v_or_b32_sdwa v25, v25, v69 dst_sel:WORD_1 dst_unused:UNUSED_PAD src0_sel:DWORD src1_sel:DWORD
	v_cmp_ne_u32_e32 vcc, 8, v93
	v_or_b32_sdwa v21, v21, v25 dst_sel:DWORD dst_unused:UNUSED_PAD src0_sel:WORD_0 src1_sel:DWORD
	v_cndmask_b32_e32 v20, 1, v20, vcc
	v_lshrrev_b32_e32 v25, 8, v78
	v_cmp_ne_u32_e32 vcc, 9, v93
	v_cndmask_b32_e32 v25, 1, v25, vcc
	v_lshlrev_b16_e32 v25, 8, v25
	v_cmp_ne_u32_e32 vcc, 10, v93
	v_lshl_or_b32 v99, v22, 16, v78
	v_or_b32_sdwa v20, v20, v25 dst_sel:DWORD dst_unused:UNUSED_PAD src0_sel:BYTE_0 src1_sel:DWORD
	v_cndmask_b32_e32 v25, 1, v66, vcc
	v_lshrrev_b32_e32 v22, 8, v22
	v_cmp_ne_u32_e32 vcc, 11, v93
	v_perm_b32 v74, v75, v74, s6
	v_cndmask_b32_e32 v22, 1, v22, vcc
	v_lshlrev_b32_e32 v75, 16, v74
	v_lshlrev_b16_e32 v22, 8, v22
	v_or_b32_e32 v75, v18, v75
	v_or_b32_sdwa v22, v25, v22 dst_sel:WORD_1 dst_unused:UNUSED_PAD src0_sel:DWORD src1_sel:DWORD
	v_or_b32_sdwa v20, v20, v22 dst_sel:DWORD dst_unused:UNUSED_PAD src0_sel:WORD_0 src1_sel:DWORD
	v_lshrrev_b32_e32 v22, 8, v75
	v_cmp_ne_u32_e32 vcc, 5, v93
	v_cndmask_b32_e32 v22, 1, v22, vcc
	v_cmp_ne_u32_e32 vcc, 4, v93
	v_lshlrev_b16_e32 v22, 8, v22
	v_cndmask_b32_e32 v18, 1, v18, vcc
	v_cmp_ne_u32_e32 vcc, 6, v93
	v_or_b32_sdwa v18, v18, v22 dst_sel:DWORD dst_unused:UNUSED_PAD src0_sel:BYTE_0 src1_sel:DWORD
	v_cndmask_b32_e32 v22, 1, v74, vcc
	v_bfe_u32 v25, v74, 8, 8
	v_cmp_ne_u32_e32 vcc, 7, v93
	v_cndmask_b32_e32 v25, 1, v25, vcc
	v_lshlrev_b16_e32 v25, 8, v25
	v_and_b32_e32 v94, 2, v27
	v_or_b32_sdwa v22, v22, v25 dst_sel:WORD_1 dst_unused:UNUSED_PAD src0_sel:BYTE_0 src1_sel:DWORD
	v_or_b32_sdwa v18, v18, v22 dst_sel:DWORD dst_unused:UNUSED_PAD src0_sel:WORD_0 src1_sel:DWORD
	v_cmp_eq_u32_e32 vcc, 0, v94
	v_cndmask_b32_e32 v17, v19, v17, vcc
	v_cndmask_b32_e32 v18, v18, v75, vcc
	;; [unrolled: 1-line block ×6, first 2 shown]
	v_cmp_ne_u32_e32 vcc, 0, v92
	v_cndmask_b32_e32 v23, 2, v17, vcc
	v_lshrrev_b32_e32 v24, 8, v17
	v_cmp_ne_u32_e32 vcc, 1, v92
	v_cndmask_b32_e32 v24, 2, v24, vcc
	v_lshlrev_b16_e32 v24, 8, v24
	v_or_b32_sdwa v23, v23, v24 dst_sel:DWORD dst_unused:UNUSED_PAD src0_sel:BYTE_0 src1_sel:DWORD
	v_lshrrev_b32_e32 v24, 24, v17
	v_cmp_ne_u32_e32 vcc, 3, v92
	v_cndmask_b32_e32 v24, 2, v24, vcc
	v_lshrrev_b32_e32 v25, 16, v17
	v_cmp_ne_u32_e32 vcc, 2, v92
	v_lshlrev_b16_e32 v24, 8, v24
	v_cndmask_b32_e32 v25, 2, v25, vcc
	v_or_b32_sdwa v24, v25, v24 dst_sel:WORD_1 dst_unused:UNUSED_PAD src0_sel:BYTE_0 src1_sel:DWORD
	v_cmp_ne_u32_e32 vcc, 20, v92
	v_or_b32_sdwa v23, v23, v24 dst_sel:DWORD dst_unused:UNUSED_PAD src0_sel:WORD_0 src1_sel:DWORD
	v_cndmask_b32_e32 v24, 2, v22, vcc
	v_lshrrev_b32_e32 v25, 8, v22
	v_cmp_ne_u32_e32 vcc, 21, v92
	v_cndmask_b32_e32 v25, 2, v25, vcc
	v_lshlrev_b16_e32 v25, 8, v25
	v_or_b32_sdwa v24, v24, v25 dst_sel:DWORD dst_unused:UNUSED_PAD src0_sel:BYTE_0 src1_sel:DWORD
	v_lshrrev_b32_e32 v25, 24, v22
	v_cmp_ne_u32_e32 vcc, 23, v92
	v_cndmask_b32_e32 v25, 2, v25, vcc
	v_lshrrev_b32_e32 v66, 16, v22
	v_cmp_ne_u32_e32 vcc, 22, v92
	v_lshlrev_b16_e32 v25, 8, v25
	v_cndmask_b32_e32 v66, 2, v66, vcc
	v_or_b32_sdwa v25, v66, v25 dst_sel:WORD_1 dst_unused:UNUSED_PAD src0_sel:BYTE_0 src1_sel:DWORD
	v_cmp_ne_u32_e32 vcc, 16, v92
	v_or_b32_sdwa v24, v24, v25 dst_sel:DWORD dst_unused:UNUSED_PAD src0_sel:WORD_0 src1_sel:DWORD
	v_cndmask_b32_e32 v25, 2, v21, vcc
	v_lshrrev_b32_e32 v66, 8, v21
	v_cmp_ne_u32_e32 vcc, 17, v92
	v_cndmask_b32_e32 v66, 2, v66, vcc
	v_lshlrev_b16_e32 v66, 8, v66
	v_or_b32_sdwa v25, v25, v66 dst_sel:DWORD dst_unused:UNUSED_PAD src0_sel:BYTE_0 src1_sel:DWORD
	v_lshrrev_b32_e32 v66, 24, v21
	v_cmp_ne_u32_e32 vcc, 19, v92
	v_cndmask_b32_e32 v66, 2, v66, vcc
	v_lshrrev_b32_e32 v69, 16, v21
	v_cmp_ne_u32_e32 vcc, 18, v92
	v_lshlrev_b16_e32 v66, 8, v66
	v_cndmask_b32_e32 v69, 2, v69, vcc
	v_or_b32_sdwa v66, v69, v66 dst_sel:WORD_1 dst_unused:UNUSED_PAD src0_sel:BYTE_0 src1_sel:DWORD
	v_cmp_ne_u32_e32 vcc, 12, v92
	v_or_b32_sdwa v25, v25, v66 dst_sel:DWORD dst_unused:UNUSED_PAD src0_sel:WORD_0 src1_sel:DWORD
	v_cndmask_b32_e32 v66, 2, v20, vcc
	v_lshrrev_b32_e32 v69, 8, v20
	v_cmp_ne_u32_e32 vcc, 13, v92
	v_cndmask_b32_e32 v69, 2, v69, vcc
	v_lshlrev_b16_e32 v69, 8, v69
	v_or_b32_sdwa v66, v66, v69 dst_sel:DWORD dst_unused:UNUSED_PAD src0_sel:BYTE_0 src1_sel:DWORD
	v_lshrrev_b32_e32 v69, 24, v20
	v_cmp_ne_u32_e32 vcc, 15, v92
	v_cndmask_b32_e32 v69, 2, v69, vcc
	v_lshrrev_b32_e32 v70, 16, v20
	v_cmp_ne_u32_e32 vcc, 14, v92
	v_lshlrev_b16_e32 v69, 8, v69
	v_cndmask_b32_e32 v70, 2, v70, vcc
	v_or_b32_sdwa v69, v70, v69 dst_sel:WORD_1 dst_unused:UNUSED_PAD src0_sel:BYTE_0 src1_sel:DWORD
	v_cmp_ne_u32_e32 vcc, 8, v92
	v_or_b32_sdwa v66, v66, v69 dst_sel:DWORD dst_unused:UNUSED_PAD src0_sel:WORD_0 src1_sel:DWORD
	v_cndmask_b32_e32 v69, 2, v19, vcc
	v_lshrrev_b32_e32 v70, 8, v19
	v_cmp_ne_u32_e32 vcc, 9, v92
	v_cndmask_b32_e32 v70, 2, v70, vcc
	v_lshlrev_b16_e32 v70, 8, v70
	v_or_b32_sdwa v69, v69, v70 dst_sel:DWORD dst_unused:UNUSED_PAD src0_sel:BYTE_0 src1_sel:DWORD
	v_lshrrev_b32_e32 v70, 24, v19
	v_cmp_ne_u32_e32 vcc, 11, v92
	v_cndmask_b32_e32 v70, 2, v70, vcc
	v_lshrrev_b32_e32 v71, 16, v19
	v_cmp_ne_u32_e32 vcc, 10, v92
	v_lshlrev_b16_e32 v70, 8, v70
	v_cndmask_b32_e32 v71, 2, v71, vcc
	v_or_b32_sdwa v70, v71, v70 dst_sel:WORD_1 dst_unused:UNUSED_PAD src0_sel:BYTE_0 src1_sel:DWORD
	v_cmp_ne_u32_e32 vcc, 4, v92
	v_or_b32_sdwa v69, v69, v70 dst_sel:DWORD dst_unused:UNUSED_PAD src0_sel:WORD_0 src1_sel:DWORD
	v_cndmask_b32_e32 v70, 2, v18, vcc
	v_lshrrev_b32_e32 v71, 8, v18
	v_cmp_ne_u32_e32 vcc, 5, v92
	v_cndmask_b32_e32 v71, 2, v71, vcc
	v_lshlrev_b16_e32 v71, 8, v71
	v_or_b32_sdwa v70, v70, v71 dst_sel:DWORD dst_unused:UNUSED_PAD src0_sel:BYTE_0 src1_sel:DWORD
	v_lshrrev_b32_e32 v71, 24, v18
	v_cmp_ne_u32_e32 vcc, 7, v92
	v_cndmask_b32_e32 v71, 2, v71, vcc
	v_lshrrev_b32_e32 v72, 16, v18
	v_cmp_ne_u32_e32 vcc, 6, v92
	v_lshlrev_b16_e32 v71, 8, v71
	v_cndmask_b32_e32 v72, 2, v72, vcc
	v_and_b32_e32 v95, 4, v27
	v_or_b32_sdwa v71, v72, v71 dst_sel:WORD_1 dst_unused:UNUSED_PAD src0_sel:BYTE_0 src1_sel:DWORD
	v_or_b32_sdwa v70, v70, v71 dst_sel:DWORD dst_unused:UNUSED_PAD src0_sel:WORD_0 src1_sel:DWORD
	v_cmp_eq_u32_e32 vcc, 0, v95
	v_cndmask_b32_e32 v17, v23, v17, vcc
	v_cndmask_b32_e32 v18, v70, v18, vcc
	;; [unrolled: 1-line block ×6, first 2 shown]
	v_cmp_ne_u32_e32 vcc, 0, v91
	v_cndmask_b32_e32 v23, 3, v17, vcc
	v_lshrrev_b32_e32 v24, 8, v17
	v_cmp_ne_u32_e32 vcc, 1, v91
	v_cndmask_b32_e32 v24, 3, v24, vcc
	v_lshlrev_b16_e32 v24, 8, v24
	v_or_b32_sdwa v23, v23, v24 dst_sel:DWORD dst_unused:UNUSED_PAD src0_sel:BYTE_0 src1_sel:DWORD
	v_lshrrev_b32_e32 v24, 24, v17
	v_cmp_ne_u32_e32 vcc, 3, v91
	v_cndmask_b32_e32 v24, 3, v24, vcc
	v_lshrrev_b32_e32 v25, 16, v17
	v_cmp_ne_u32_e32 vcc, 2, v91
	v_lshlrev_b16_e32 v24, 8, v24
	v_cndmask_b32_e32 v25, 3, v25, vcc
	v_or_b32_sdwa v24, v25, v24 dst_sel:WORD_1 dst_unused:UNUSED_PAD src0_sel:BYTE_0 src1_sel:DWORD
	v_cmp_ne_u32_e32 vcc, 20, v91
	v_or_b32_sdwa v23, v23, v24 dst_sel:DWORD dst_unused:UNUSED_PAD src0_sel:WORD_0 src1_sel:DWORD
	v_cndmask_b32_e32 v24, 3, v22, vcc
	v_lshrrev_b32_e32 v25, 8, v22
	v_cmp_ne_u32_e32 vcc, 21, v91
	v_cndmask_b32_e32 v25, 3, v25, vcc
	v_lshlrev_b16_e32 v25, 8, v25
	v_or_b32_sdwa v24, v24, v25 dst_sel:DWORD dst_unused:UNUSED_PAD src0_sel:BYTE_0 src1_sel:DWORD
	v_lshrrev_b32_e32 v25, 24, v22
	v_cmp_ne_u32_e32 vcc, 23, v91
	v_cndmask_b32_e32 v25, 3, v25, vcc
	v_lshrrev_b32_e32 v66, 16, v22
	v_cmp_ne_u32_e32 vcc, 22, v91
	v_lshlrev_b16_e32 v25, 8, v25
	v_cndmask_b32_e32 v66, 3, v66, vcc
	v_or_b32_sdwa v25, v66, v25 dst_sel:WORD_1 dst_unused:UNUSED_PAD src0_sel:BYTE_0 src1_sel:DWORD
	v_cmp_ne_u32_e32 vcc, 16, v91
	v_or_b32_sdwa v24, v24, v25 dst_sel:DWORD dst_unused:UNUSED_PAD src0_sel:WORD_0 src1_sel:DWORD
	;; [unrolled: 16-line block ×5, first 2 shown]
	v_cndmask_b32_e32 v70, 3, v18, vcc
	v_lshrrev_b32_e32 v71, 8, v18
	v_cmp_ne_u32_e32 vcc, 5, v91
	v_cndmask_b32_e32 v71, 3, v71, vcc
	v_lshlrev_b16_e32 v71, 8, v71
	v_or_b32_sdwa v70, v70, v71 dst_sel:DWORD dst_unused:UNUSED_PAD src0_sel:BYTE_0 src1_sel:DWORD
	v_lshrrev_b32_e32 v71, 24, v18
	v_cmp_ne_u32_e32 vcc, 7, v91
	v_cndmask_b32_e32 v71, 3, v71, vcc
	v_lshrrev_b32_e32 v72, 16, v18
	v_cmp_ne_u32_e32 vcc, 6, v91
	v_lshlrev_b16_e32 v71, 8, v71
	v_cndmask_b32_e32 v72, 3, v72, vcc
	v_and_b32_e32 v96, 8, v27
	v_or_b32_sdwa v71, v72, v71 dst_sel:WORD_1 dst_unused:UNUSED_PAD src0_sel:BYTE_0 src1_sel:DWORD
	v_or_b32_sdwa v70, v70, v71 dst_sel:DWORD dst_unused:UNUSED_PAD src0_sel:WORD_0 src1_sel:DWORD
	v_cmp_eq_u32_e32 vcc, 0, v96
	v_cndmask_b32_e32 v17, v23, v17, vcc
	v_cndmask_b32_e32 v18, v70, v18, vcc
	;; [unrolled: 1-line block ×6, first 2 shown]
	v_cmp_ne_u32_e32 vcc, 0, v90
	v_cndmask_b32_e32 v23, 4, v17, vcc
	v_lshrrev_b32_e32 v24, 8, v17
	v_cmp_ne_u32_e32 vcc, 1, v90
	v_cndmask_b32_e32 v24, 4, v24, vcc
	v_lshlrev_b16_e32 v24, 8, v24
	v_or_b32_sdwa v23, v23, v24 dst_sel:DWORD dst_unused:UNUSED_PAD src0_sel:BYTE_0 src1_sel:DWORD
	v_lshrrev_b32_e32 v24, 24, v17
	v_cmp_ne_u32_e32 vcc, 3, v90
	v_cndmask_b32_e32 v24, 4, v24, vcc
	v_lshrrev_b32_e32 v25, 16, v17
	v_cmp_ne_u32_e32 vcc, 2, v90
	v_lshlrev_b16_e32 v24, 8, v24
	v_cndmask_b32_e32 v25, 4, v25, vcc
	v_or_b32_sdwa v24, v25, v24 dst_sel:WORD_1 dst_unused:UNUSED_PAD src0_sel:BYTE_0 src1_sel:DWORD
	v_cmp_ne_u32_e32 vcc, 20, v90
	v_or_b32_sdwa v23, v23, v24 dst_sel:DWORD dst_unused:UNUSED_PAD src0_sel:WORD_0 src1_sel:DWORD
	v_cndmask_b32_e32 v24, 4, v22, vcc
	v_lshrrev_b32_e32 v25, 8, v22
	v_cmp_ne_u32_e32 vcc, 21, v90
	v_cndmask_b32_e32 v25, 4, v25, vcc
	v_lshlrev_b16_e32 v25, 8, v25
	v_or_b32_sdwa v24, v24, v25 dst_sel:DWORD dst_unused:UNUSED_PAD src0_sel:BYTE_0 src1_sel:DWORD
	v_lshrrev_b32_e32 v25, 24, v22
	v_cmp_ne_u32_e32 vcc, 23, v90
	v_cndmask_b32_e32 v25, 4, v25, vcc
	v_lshrrev_b32_e32 v66, 16, v22
	v_cmp_ne_u32_e32 vcc, 22, v90
	v_lshlrev_b16_e32 v25, 8, v25
	v_cndmask_b32_e32 v66, 4, v66, vcc
	v_or_b32_sdwa v25, v66, v25 dst_sel:WORD_1 dst_unused:UNUSED_PAD src0_sel:BYTE_0 src1_sel:DWORD
	v_cmp_ne_u32_e32 vcc, 16, v90
	v_or_b32_sdwa v24, v24, v25 dst_sel:DWORD dst_unused:UNUSED_PAD src0_sel:WORD_0 src1_sel:DWORD
	;; [unrolled: 16-line block ×5, first 2 shown]
	v_cndmask_b32_e32 v70, 4, v18, vcc
	v_lshrrev_b32_e32 v71, 8, v18
	v_cmp_ne_u32_e32 vcc, 5, v90
	v_cndmask_b32_e32 v71, 4, v71, vcc
	v_lshlrev_b16_e32 v71, 8, v71
	v_or_b32_sdwa v70, v70, v71 dst_sel:DWORD dst_unused:UNUSED_PAD src0_sel:BYTE_0 src1_sel:DWORD
	v_lshrrev_b32_e32 v71, 24, v18
	v_cmp_ne_u32_e32 vcc, 7, v90
	v_cndmask_b32_e32 v71, 4, v71, vcc
	v_lshrrev_b32_e32 v72, 16, v18
	v_cmp_ne_u32_e32 vcc, 6, v90
	v_lshlrev_b16_e32 v71, 8, v71
	v_cndmask_b32_e32 v72, 4, v72, vcc
	v_and_b32_e32 v97, 16, v27
	v_or_b32_sdwa v71, v72, v71 dst_sel:WORD_1 dst_unused:UNUSED_PAD src0_sel:BYTE_0 src1_sel:DWORD
	v_or_b32_sdwa v70, v70, v71 dst_sel:DWORD dst_unused:UNUSED_PAD src0_sel:WORD_0 src1_sel:DWORD
	v_cmp_eq_u32_e32 vcc, 0, v97
	v_cndmask_b32_e32 v17, v23, v17, vcc
	v_cndmask_b32_e32 v18, v70, v18, vcc
	;; [unrolled: 1-line block ×6, first 2 shown]
	v_cmp_ne_u32_e32 vcc, 0, v88
	v_cndmask_b32_e32 v23, 5, v17, vcc
	v_lshrrev_b32_e32 v24, 8, v17
	v_cmp_ne_u32_e32 vcc, 1, v88
	v_cndmask_b32_e32 v24, 5, v24, vcc
	v_lshlrev_b16_e32 v24, 8, v24
	v_or_b32_sdwa v23, v23, v24 dst_sel:DWORD dst_unused:UNUSED_PAD src0_sel:BYTE_0 src1_sel:DWORD
	v_lshrrev_b32_e32 v24, 24, v17
	v_cmp_ne_u32_e32 vcc, 3, v88
	v_cndmask_b32_e32 v24, 5, v24, vcc
	v_lshrrev_b32_e32 v25, 16, v17
	v_cmp_ne_u32_e32 vcc, 2, v88
	v_lshlrev_b16_e32 v24, 8, v24
	v_cndmask_b32_e32 v25, 5, v25, vcc
	v_or_b32_sdwa v24, v25, v24 dst_sel:WORD_1 dst_unused:UNUSED_PAD src0_sel:BYTE_0 src1_sel:DWORD
	v_cmp_ne_u32_e32 vcc, 20, v88
	v_or_b32_sdwa v23, v23, v24 dst_sel:DWORD dst_unused:UNUSED_PAD src0_sel:WORD_0 src1_sel:DWORD
	v_cndmask_b32_e32 v24, 5, v22, vcc
	v_lshrrev_b32_e32 v25, 8, v22
	v_cmp_ne_u32_e32 vcc, 21, v88
	v_cndmask_b32_e32 v25, 5, v25, vcc
	v_lshlrev_b16_e32 v25, 8, v25
	v_or_b32_sdwa v24, v24, v25 dst_sel:DWORD dst_unused:UNUSED_PAD src0_sel:BYTE_0 src1_sel:DWORD
	v_lshrrev_b32_e32 v25, 24, v22
	v_cmp_ne_u32_e32 vcc, 23, v88
	v_cndmask_b32_e32 v25, 5, v25, vcc
	v_lshrrev_b32_e32 v66, 16, v22
	v_cmp_ne_u32_e32 vcc, 22, v88
	v_lshlrev_b16_e32 v25, 8, v25
	v_cndmask_b32_e32 v66, 5, v66, vcc
	v_or_b32_sdwa v25, v66, v25 dst_sel:WORD_1 dst_unused:UNUSED_PAD src0_sel:BYTE_0 src1_sel:DWORD
	v_cmp_ne_u32_e32 vcc, 16, v88
	v_or_b32_sdwa v24, v24, v25 dst_sel:DWORD dst_unused:UNUSED_PAD src0_sel:WORD_0 src1_sel:DWORD
	;; [unrolled: 16-line block ×5, first 2 shown]
	v_cndmask_b32_e32 v70, 5, v18, vcc
	v_lshrrev_b32_e32 v71, 8, v18
	v_cmp_ne_u32_e32 vcc, 5, v88
	v_cndmask_b32_e32 v71, 5, v71, vcc
	v_lshlrev_b16_e32 v71, 8, v71
	v_or_b32_sdwa v70, v70, v71 dst_sel:DWORD dst_unused:UNUSED_PAD src0_sel:BYTE_0 src1_sel:DWORD
	v_lshrrev_b32_e32 v71, 24, v18
	v_cmp_ne_u32_e32 vcc, 7, v88
	v_cndmask_b32_e32 v71, 5, v71, vcc
	v_lshrrev_b32_e32 v72, 16, v18
	v_cmp_ne_u32_e32 vcc, 6, v88
	v_lshlrev_b16_e32 v71, 8, v71
	v_cndmask_b32_e32 v72, 5, v72, vcc
	v_and_b32_e32 v89, 32, v27
	v_or_b32_sdwa v71, v72, v71 dst_sel:WORD_1 dst_unused:UNUSED_PAD src0_sel:BYTE_0 src1_sel:DWORD
	v_or_b32_sdwa v70, v70, v71 dst_sel:DWORD dst_unused:UNUSED_PAD src0_sel:WORD_0 src1_sel:DWORD
	v_cmp_eq_u32_e32 vcc, 0, v89
	v_cndmask_b32_e32 v17, v23, v17, vcc
	v_cndmask_b32_e32 v18, v70, v18, vcc
	;; [unrolled: 1-line block ×6, first 2 shown]
	v_cmp_ne_u32_e32 vcc, 0, v86
	v_cndmask_b32_e32 v23, 6, v17, vcc
	v_lshrrev_b32_e32 v24, 8, v17
	v_cmp_ne_u32_e32 vcc, 1, v86
	v_cndmask_b32_e32 v24, 6, v24, vcc
	v_lshlrev_b16_e32 v24, 8, v24
	v_or_b32_sdwa v23, v23, v24 dst_sel:DWORD dst_unused:UNUSED_PAD src0_sel:BYTE_0 src1_sel:DWORD
	v_lshrrev_b32_e32 v24, 24, v17
	v_cmp_ne_u32_e32 vcc, 3, v86
	v_cndmask_b32_e32 v24, 6, v24, vcc
	v_lshrrev_b32_e32 v25, 16, v17
	v_cmp_ne_u32_e32 vcc, 2, v86
	v_lshlrev_b16_e32 v24, 8, v24
	v_cndmask_b32_e32 v25, 6, v25, vcc
	v_or_b32_sdwa v24, v25, v24 dst_sel:WORD_1 dst_unused:UNUSED_PAD src0_sel:BYTE_0 src1_sel:DWORD
	v_cmp_ne_u32_e32 vcc, 20, v86
	v_or_b32_sdwa v23, v23, v24 dst_sel:DWORD dst_unused:UNUSED_PAD src0_sel:WORD_0 src1_sel:DWORD
	v_cndmask_b32_e32 v24, 6, v22, vcc
	v_lshrrev_b32_e32 v25, 8, v22
	v_cmp_ne_u32_e32 vcc, 21, v86
	v_cndmask_b32_e32 v25, 6, v25, vcc
	v_lshlrev_b16_e32 v25, 8, v25
	v_or_b32_sdwa v24, v24, v25 dst_sel:DWORD dst_unused:UNUSED_PAD src0_sel:BYTE_0 src1_sel:DWORD
	v_lshrrev_b32_e32 v25, 24, v22
	v_cmp_ne_u32_e32 vcc, 23, v86
	v_cndmask_b32_e32 v25, 6, v25, vcc
	v_lshrrev_b32_e32 v66, 16, v22
	v_cmp_ne_u32_e32 vcc, 22, v86
	v_lshlrev_b16_e32 v25, 8, v25
	v_cndmask_b32_e32 v66, 6, v66, vcc
	v_or_b32_sdwa v25, v66, v25 dst_sel:WORD_1 dst_unused:UNUSED_PAD src0_sel:BYTE_0 src1_sel:DWORD
	v_cmp_ne_u32_e32 vcc, 16, v86
	v_or_b32_sdwa v24, v24, v25 dst_sel:DWORD dst_unused:UNUSED_PAD src0_sel:WORD_0 src1_sel:DWORD
	;; [unrolled: 16-line block ×5, first 2 shown]
	v_cndmask_b32_e32 v70, 6, v18, vcc
	v_lshrrev_b32_e32 v71, 8, v18
	v_cmp_ne_u32_e32 vcc, 5, v86
	v_cndmask_b32_e32 v71, 6, v71, vcc
	v_lshlrev_b16_e32 v71, 8, v71
	v_or_b32_sdwa v70, v70, v71 dst_sel:DWORD dst_unused:UNUSED_PAD src0_sel:BYTE_0 src1_sel:DWORD
	v_lshrrev_b32_e32 v71, 24, v18
	v_cmp_ne_u32_e32 vcc, 7, v86
	v_cndmask_b32_e32 v71, 6, v71, vcc
	v_lshrrev_b32_e32 v72, 16, v18
	v_cmp_ne_u32_e32 vcc, 6, v86
	v_lshlrev_b16_e32 v71, 8, v71
	v_cndmask_b32_e32 v72, 6, v72, vcc
	v_and_b32_e32 v87, 64, v27
	v_or_b32_sdwa v71, v72, v71 dst_sel:WORD_1 dst_unused:UNUSED_PAD src0_sel:BYTE_0 src1_sel:DWORD
	v_or_b32_sdwa v70, v70, v71 dst_sel:DWORD dst_unused:UNUSED_PAD src0_sel:WORD_0 src1_sel:DWORD
	v_cmp_eq_u32_e32 vcc, 0, v87
	v_cndmask_b32_e32 v17, v23, v17, vcc
	v_cndmask_b32_e32 v18, v70, v18, vcc
	;; [unrolled: 1-line block ×6, first 2 shown]
	v_cmp_ne_u32_e32 vcc, 0, v84
	v_cndmask_b32_e32 v23, 7, v17, vcc
	v_lshrrev_b32_e32 v24, 8, v17
	v_cmp_ne_u32_e32 vcc, 1, v84
	v_cndmask_b32_e32 v24, 7, v24, vcc
	v_lshlrev_b16_e32 v24, 8, v24
	v_or_b32_sdwa v23, v23, v24 dst_sel:DWORD dst_unused:UNUSED_PAD src0_sel:BYTE_0 src1_sel:DWORD
	v_lshrrev_b32_e32 v24, 24, v17
	v_cmp_ne_u32_e32 vcc, 3, v84
	v_cndmask_b32_e32 v24, 7, v24, vcc
	v_lshrrev_b32_e32 v25, 16, v17
	v_cmp_ne_u32_e32 vcc, 2, v84
	v_lshlrev_b16_e32 v24, 8, v24
	v_cndmask_b32_e32 v25, 7, v25, vcc
	v_or_b32_sdwa v24, v25, v24 dst_sel:WORD_1 dst_unused:UNUSED_PAD src0_sel:BYTE_0 src1_sel:DWORD
	v_cmp_ne_u32_e32 vcc, 20, v84
	v_or_b32_sdwa v23, v23, v24 dst_sel:DWORD dst_unused:UNUSED_PAD src0_sel:WORD_0 src1_sel:DWORD
	v_cndmask_b32_e32 v24, 7, v22, vcc
	v_lshrrev_b32_e32 v25, 8, v22
	v_cmp_ne_u32_e32 vcc, 21, v84
	v_cndmask_b32_e32 v25, 7, v25, vcc
	v_lshlrev_b16_e32 v25, 8, v25
	v_or_b32_sdwa v24, v24, v25 dst_sel:DWORD dst_unused:UNUSED_PAD src0_sel:BYTE_0 src1_sel:DWORD
	v_lshrrev_b32_e32 v25, 24, v22
	v_cmp_ne_u32_e32 vcc, 23, v84
	v_cndmask_b32_e32 v25, 7, v25, vcc
	v_lshrrev_b32_e32 v66, 16, v22
	v_cmp_ne_u32_e32 vcc, 22, v84
	v_lshlrev_b16_e32 v25, 8, v25
	v_cndmask_b32_e32 v66, 7, v66, vcc
	v_or_b32_sdwa v25, v66, v25 dst_sel:WORD_1 dst_unused:UNUSED_PAD src0_sel:BYTE_0 src1_sel:DWORD
	v_cmp_ne_u32_e32 vcc, 16, v84
	v_or_b32_sdwa v24, v24, v25 dst_sel:DWORD dst_unused:UNUSED_PAD src0_sel:WORD_0 src1_sel:DWORD
	;; [unrolled: 16-line block ×5, first 2 shown]
	v_cndmask_b32_e32 v70, 7, v18, vcc
	v_lshrrev_b32_e32 v71, 8, v18
	v_cmp_ne_u32_e32 vcc, 5, v84
	v_cndmask_b32_e32 v71, 7, v71, vcc
	v_lshlrev_b16_e32 v71, 8, v71
	v_or_b32_sdwa v70, v70, v71 dst_sel:DWORD dst_unused:UNUSED_PAD src0_sel:BYTE_0 src1_sel:DWORD
	v_lshrrev_b32_e32 v71, 24, v18
	v_cmp_ne_u32_e32 vcc, 7, v84
	v_cndmask_b32_e32 v71, 7, v71, vcc
	v_lshrrev_b32_e32 v72, 16, v18
	v_cmp_ne_u32_e32 vcc, 6, v84
	v_lshlrev_b16_e32 v71, 8, v71
	v_cndmask_b32_e32 v72, 7, v72, vcc
	v_and_b32_e32 v85, 0x80, v27
	v_or_b32_sdwa v71, v72, v71 dst_sel:WORD_1 dst_unused:UNUSED_PAD src0_sel:BYTE_0 src1_sel:DWORD
	v_or_b32_sdwa v70, v70, v71 dst_sel:DWORD dst_unused:UNUSED_PAD src0_sel:WORD_0 src1_sel:DWORD
	v_cmp_eq_u32_e32 vcc, 0, v85
	v_cndmask_b32_e32 v17, v23, v17, vcc
	v_cndmask_b32_e32 v18, v70, v18, vcc
	;; [unrolled: 1-line block ×6, first 2 shown]
	v_cmp_ne_u32_e32 vcc, 0, v68
	v_cndmask_b32_e32 v23, 8, v17, vcc
	v_lshrrev_b32_e32 v24, 8, v17
	v_cmp_ne_u32_e32 vcc, 1, v68
	v_cndmask_b32_e32 v24, 8, v24, vcc
	v_lshlrev_b16_e32 v24, 8, v24
	v_or_b32_sdwa v23, v23, v24 dst_sel:DWORD dst_unused:UNUSED_PAD src0_sel:BYTE_0 src1_sel:DWORD
	v_lshrrev_b32_e32 v24, 24, v17
	v_cmp_ne_u32_e32 vcc, 3, v68
	v_cndmask_b32_e32 v24, 8, v24, vcc
	v_lshrrev_b32_e32 v25, 16, v17
	v_cmp_ne_u32_e32 vcc, 2, v68
	v_lshlrev_b16_e32 v24, 8, v24
	v_cndmask_b32_e32 v25, 8, v25, vcc
	v_or_b32_sdwa v24, v25, v24 dst_sel:WORD_1 dst_unused:UNUSED_PAD src0_sel:BYTE_0 src1_sel:DWORD
	v_cmp_ne_u32_e32 vcc, 20, v68
	v_or_b32_sdwa v23, v23, v24 dst_sel:DWORD dst_unused:UNUSED_PAD src0_sel:WORD_0 src1_sel:DWORD
	v_cndmask_b32_e32 v24, 8, v22, vcc
	v_lshrrev_b32_e32 v25, 8, v22
	v_cmp_ne_u32_e32 vcc, 21, v68
	v_cndmask_b32_e32 v25, 8, v25, vcc
	v_lshlrev_b16_e32 v25, 8, v25
	v_or_b32_sdwa v24, v24, v25 dst_sel:DWORD dst_unused:UNUSED_PAD src0_sel:BYTE_0 src1_sel:DWORD
	v_lshrrev_b32_e32 v25, 24, v22
	v_cmp_ne_u32_e32 vcc, 23, v68
	v_cndmask_b32_e32 v25, 8, v25, vcc
	v_lshrrev_b32_e32 v66, 16, v22
	v_cmp_ne_u32_e32 vcc, 22, v68
	v_lshlrev_b16_e32 v25, 8, v25
	v_cndmask_b32_e32 v66, 8, v66, vcc
	v_or_b32_sdwa v25, v66, v25 dst_sel:WORD_1 dst_unused:UNUSED_PAD src0_sel:BYTE_0 src1_sel:DWORD
	v_cmp_ne_u32_e32 vcc, 16, v68
	v_or_b32_sdwa v24, v24, v25 dst_sel:DWORD dst_unused:UNUSED_PAD src0_sel:WORD_0 src1_sel:DWORD
	;; [unrolled: 16-line block ×5, first 2 shown]
	v_cndmask_b32_e32 v70, 8, v18, vcc
	v_lshrrev_b32_e32 v71, 8, v18
	v_cmp_ne_u32_e32 vcc, 5, v68
	v_cndmask_b32_e32 v71, 8, v71, vcc
	v_lshlrev_b16_e32 v71, 8, v71
	v_or_b32_sdwa v70, v70, v71 dst_sel:DWORD dst_unused:UNUSED_PAD src0_sel:BYTE_0 src1_sel:DWORD
	v_lshrrev_b32_e32 v71, 24, v18
	v_cmp_ne_u32_e32 vcc, 7, v68
	v_cndmask_b32_e32 v71, 8, v71, vcc
	v_lshrrev_b32_e32 v72, 16, v18
	v_cmp_ne_u32_e32 vcc, 6, v68
	v_lshlrev_b16_e32 v71, 8, v71
	v_cndmask_b32_e32 v68, 8, v72, vcc
	v_and_b32_e32 v77, 0x100, v27
	v_or_b32_sdwa v68, v68, v71 dst_sel:WORD_1 dst_unused:UNUSED_PAD src0_sel:BYTE_0 src1_sel:DWORD
	v_or_b32_sdwa v68, v70, v68 dst_sel:DWORD dst_unused:UNUSED_PAD src0_sel:WORD_0 src1_sel:DWORD
	v_cmp_eq_u32_e32 vcc, 0, v77
	v_cndmask_b32_e32 v17, v23, v17, vcc
	v_cndmask_b32_e32 v18, v68, v18, vcc
	;; [unrolled: 1-line block ×6, first 2 shown]
	v_cmp_ne_u32_e32 vcc, 0, v64
	v_cndmask_b32_e32 v23, 9, v17, vcc
	v_lshrrev_b32_e32 v24, 8, v17
	v_cmp_ne_u32_e32 vcc, 1, v64
	v_cndmask_b32_e32 v24, 9, v24, vcc
	v_lshlrev_b16_e32 v24, 8, v24
	v_or_b32_sdwa v23, v23, v24 dst_sel:DWORD dst_unused:UNUSED_PAD src0_sel:BYTE_0 src1_sel:DWORD
	v_lshrrev_b32_e32 v24, 24, v17
	v_cmp_ne_u32_e32 vcc, 3, v64
	v_cndmask_b32_e32 v24, 9, v24, vcc
	v_lshrrev_b32_e32 v25, 16, v17
	v_cmp_ne_u32_e32 vcc, 2, v64
	v_lshlrev_b16_e32 v24, 8, v24
	v_cndmask_b32_e32 v25, 9, v25, vcc
	v_or_b32_sdwa v24, v25, v24 dst_sel:WORD_1 dst_unused:UNUSED_PAD src0_sel:BYTE_0 src1_sel:DWORD
	v_cmp_ne_u32_e32 vcc, 20, v64
	v_or_b32_sdwa v23, v23, v24 dst_sel:DWORD dst_unused:UNUSED_PAD src0_sel:WORD_0 src1_sel:DWORD
	v_cndmask_b32_e32 v24, 9, v22, vcc
	v_lshrrev_b32_e32 v25, 8, v22
	v_cmp_ne_u32_e32 vcc, 21, v64
	v_cndmask_b32_e32 v25, 9, v25, vcc
	v_lshlrev_b16_e32 v25, 8, v25
	v_or_b32_sdwa v24, v24, v25 dst_sel:DWORD dst_unused:UNUSED_PAD src0_sel:BYTE_0 src1_sel:DWORD
	v_lshrrev_b32_e32 v25, 24, v22
	v_cmp_ne_u32_e32 vcc, 23, v64
	v_cndmask_b32_e32 v25, 9, v25, vcc
	v_lshrrev_b32_e32 v66, 16, v22
	v_cmp_ne_u32_e32 vcc, 22, v64
	v_lshlrev_b16_e32 v25, 8, v25
	v_cndmask_b32_e32 v66, 9, v66, vcc
	v_or_b32_sdwa v25, v66, v25 dst_sel:WORD_1 dst_unused:UNUSED_PAD src0_sel:BYTE_0 src1_sel:DWORD
	v_cmp_ne_u32_e32 vcc, 16, v64
	v_or_b32_sdwa v24, v24, v25 dst_sel:DWORD dst_unused:UNUSED_PAD src0_sel:WORD_0 src1_sel:DWORD
	;; [unrolled: 16-line block ×5, first 2 shown]
	v_cndmask_b32_e32 v69, 9, v18, vcc
	v_lshrrev_b32_e32 v70, 8, v18
	v_cmp_ne_u32_e32 vcc, 5, v64
	v_cndmask_b32_e32 v70, 9, v70, vcc
	v_lshlrev_b16_e32 v70, 8, v70
	v_or_b32_sdwa v69, v69, v70 dst_sel:DWORD dst_unused:UNUSED_PAD src0_sel:BYTE_0 src1_sel:DWORD
	v_lshrrev_b32_e32 v70, 24, v18
	v_cmp_ne_u32_e32 vcc, 7, v64
	v_cndmask_b32_e32 v70, 9, v70, vcc
	v_lshrrev_b32_e32 v71, 16, v18
	v_cmp_ne_u32_e32 vcc, 6, v64
	v_lshlrev_b16_e32 v70, 8, v70
	v_cndmask_b32_e32 v64, 9, v71, vcc
	v_and_b32_e32 v65, 0x200, v27
	v_or_b32_sdwa v64, v64, v70 dst_sel:WORD_1 dst_unused:UNUSED_PAD src0_sel:BYTE_0 src1_sel:DWORD
	v_or_b32_sdwa v64, v69, v64 dst_sel:DWORD dst_unused:UNUSED_PAD src0_sel:WORD_0 src1_sel:DWORD
	v_cmp_eq_u32_e32 vcc, 0, v65
	v_cndmask_b32_e32 v17, v23, v17, vcc
	v_cndmask_b32_e32 v18, v64, v18, vcc
	;; [unrolled: 1-line block ×6, first 2 shown]
	v_cmp_ne_u32_e32 vcc, 0, v62
	v_cndmask_b32_e32 v23, 10, v17, vcc
	v_lshrrev_b32_e32 v24, 8, v17
	v_cmp_ne_u32_e32 vcc, 1, v62
	v_cndmask_b32_e32 v24, 10, v24, vcc
	v_lshlrev_b16_e32 v24, 8, v24
	v_or_b32_sdwa v23, v23, v24 dst_sel:DWORD dst_unused:UNUSED_PAD src0_sel:BYTE_0 src1_sel:DWORD
	v_lshrrev_b32_e32 v24, 24, v17
	v_cmp_ne_u32_e32 vcc, 3, v62
	v_cndmask_b32_e32 v24, 10, v24, vcc
	v_lshrrev_b32_e32 v25, 16, v17
	v_cmp_ne_u32_e32 vcc, 2, v62
	v_lshlrev_b16_e32 v24, 8, v24
	v_cndmask_b32_e32 v25, 10, v25, vcc
	v_or_b32_sdwa v24, v25, v24 dst_sel:WORD_1 dst_unused:UNUSED_PAD src0_sel:BYTE_0 src1_sel:DWORD
	v_cmp_ne_u32_e32 vcc, 20, v62
	v_or_b32_sdwa v23, v23, v24 dst_sel:DWORD dst_unused:UNUSED_PAD src0_sel:WORD_0 src1_sel:DWORD
	v_cndmask_b32_e32 v24, 10, v22, vcc
	v_lshrrev_b32_e32 v25, 8, v22
	v_cmp_ne_u32_e32 vcc, 21, v62
	v_cndmask_b32_e32 v25, 10, v25, vcc
	v_lshlrev_b16_e32 v25, 8, v25
	v_or_b32_sdwa v24, v24, v25 dst_sel:DWORD dst_unused:UNUSED_PAD src0_sel:BYTE_0 src1_sel:DWORD
	v_lshrrev_b32_e32 v25, 24, v22
	v_cmp_ne_u32_e32 vcc, 23, v62
	v_cndmask_b32_e32 v25, 10, v25, vcc
	v_lshrrev_b32_e32 v64, 16, v22
	v_cmp_ne_u32_e32 vcc, 22, v62
	v_lshlrev_b16_e32 v25, 8, v25
	v_cndmask_b32_e32 v64, 10, v64, vcc
	v_or_b32_sdwa v25, v64, v25 dst_sel:WORD_1 dst_unused:UNUSED_PAD src0_sel:BYTE_0 src1_sel:DWORD
	v_cmp_ne_u32_e32 vcc, 16, v62
	v_or_b32_sdwa v24, v24, v25 dst_sel:DWORD dst_unused:UNUSED_PAD src0_sel:WORD_0 src1_sel:DWORD
	;; [unrolled: 16-line block ×5, first 2 shown]
	v_cndmask_b32_e32 v66, 10, v18, vcc
	v_lshrrev_b32_e32 v68, 8, v18
	v_cmp_ne_u32_e32 vcc, 5, v62
	v_cndmask_b32_e32 v68, 10, v68, vcc
	v_lshlrev_b16_e32 v68, 8, v68
	v_or_b32_sdwa v66, v66, v68 dst_sel:DWORD dst_unused:UNUSED_PAD src0_sel:BYTE_0 src1_sel:DWORD
	v_lshrrev_b32_e32 v68, 24, v18
	v_cmp_ne_u32_e32 vcc, 7, v62
	v_cndmask_b32_e32 v68, 10, v68, vcc
	v_lshrrev_b32_e32 v69, 16, v18
	v_cmp_ne_u32_e32 vcc, 6, v62
	v_lshlrev_b16_e32 v68, 8, v68
	v_cndmask_b32_e32 v62, 10, v69, vcc
	v_and_b32_e32 v63, 0x400, v27
	v_or_b32_sdwa v62, v62, v68 dst_sel:WORD_1 dst_unused:UNUSED_PAD src0_sel:BYTE_0 src1_sel:DWORD
	v_or_b32_sdwa v62, v66, v62 dst_sel:DWORD dst_unused:UNUSED_PAD src0_sel:WORD_0 src1_sel:DWORD
	v_cmp_eq_u32_e32 vcc, 0, v63
	v_cndmask_b32_e32 v17, v23, v17, vcc
	v_cndmask_b32_e32 v18, v62, v18, vcc
	;; [unrolled: 1-line block ×6, first 2 shown]
	v_cmp_ne_u32_e32 vcc, 0, v60
	v_cndmask_b32_e32 v23, 11, v17, vcc
	v_lshrrev_b32_e32 v24, 8, v17
	v_cmp_ne_u32_e32 vcc, 1, v60
	v_cndmask_b32_e32 v24, 11, v24, vcc
	v_lshlrev_b16_e32 v24, 8, v24
	v_or_b32_sdwa v23, v23, v24 dst_sel:DWORD dst_unused:UNUSED_PAD src0_sel:BYTE_0 src1_sel:DWORD
	v_lshrrev_b32_e32 v24, 24, v17
	v_cmp_ne_u32_e32 vcc, 3, v60
	v_cndmask_b32_e32 v24, 11, v24, vcc
	v_lshrrev_b32_e32 v25, 16, v17
	v_cmp_ne_u32_e32 vcc, 2, v60
	v_lshlrev_b16_e32 v24, 8, v24
	v_cndmask_b32_e32 v25, 11, v25, vcc
	v_or_b32_sdwa v24, v25, v24 dst_sel:WORD_1 dst_unused:UNUSED_PAD src0_sel:BYTE_0 src1_sel:DWORD
	v_cmp_ne_u32_e32 vcc, 20, v60
	v_or_b32_sdwa v23, v23, v24 dst_sel:DWORD dst_unused:UNUSED_PAD src0_sel:WORD_0 src1_sel:DWORD
	v_cndmask_b32_e32 v24, 11, v22, vcc
	v_lshrrev_b32_e32 v25, 8, v22
	v_cmp_ne_u32_e32 vcc, 21, v60
	v_cndmask_b32_e32 v25, 11, v25, vcc
	v_lshlrev_b16_e32 v25, 8, v25
	v_or_b32_sdwa v24, v24, v25 dst_sel:DWORD dst_unused:UNUSED_PAD src0_sel:BYTE_0 src1_sel:DWORD
	v_lshrrev_b32_e32 v25, 24, v22
	v_cmp_ne_u32_e32 vcc, 23, v60
	v_cndmask_b32_e32 v25, 11, v25, vcc
	v_lshrrev_b32_e32 v62, 16, v22
	v_cmp_ne_u32_e32 vcc, 22, v60
	v_lshlrev_b16_e32 v25, 8, v25
	v_cndmask_b32_e32 v62, 11, v62, vcc
	v_or_b32_sdwa v25, v62, v25 dst_sel:WORD_1 dst_unused:UNUSED_PAD src0_sel:BYTE_0 src1_sel:DWORD
	v_cmp_ne_u32_e32 vcc, 16, v60
	v_or_b32_sdwa v24, v24, v25 dst_sel:DWORD dst_unused:UNUSED_PAD src0_sel:WORD_0 src1_sel:DWORD
	;; [unrolled: 16-line block ×5, first 2 shown]
	v_cndmask_b32_e32 v64, 11, v18, vcc
	v_lshrrev_b32_e32 v65, 8, v18
	v_cmp_ne_u32_e32 vcc, 5, v60
	v_cndmask_b32_e32 v65, 11, v65, vcc
	v_lshlrev_b16_e32 v65, 8, v65
	v_or_b32_sdwa v64, v64, v65 dst_sel:DWORD dst_unused:UNUSED_PAD src0_sel:BYTE_0 src1_sel:DWORD
	v_lshrrev_b32_e32 v65, 24, v18
	v_cmp_ne_u32_e32 vcc, 7, v60
	v_cndmask_b32_e32 v65, 11, v65, vcc
	v_lshrrev_b32_e32 v66, 16, v18
	v_cmp_ne_u32_e32 vcc, 6, v60
	v_lshlrev_b16_e32 v65, 8, v65
	v_cndmask_b32_e32 v60, 11, v66, vcc
	v_and_b32_e32 v61, 0x800, v27
	v_or_b32_sdwa v60, v60, v65 dst_sel:WORD_1 dst_unused:UNUSED_PAD src0_sel:BYTE_0 src1_sel:DWORD
	v_or_b32_sdwa v60, v64, v60 dst_sel:DWORD dst_unused:UNUSED_PAD src0_sel:WORD_0 src1_sel:DWORD
	v_cmp_eq_u32_e32 vcc, 0, v61
	v_cndmask_b32_e32 v17, v23, v17, vcc
	v_cndmask_b32_e32 v18, v60, v18, vcc
	;; [unrolled: 1-line block ×6, first 2 shown]
	v_cmp_ne_u32_e32 vcc, 0, v58
	v_cndmask_b32_e32 v23, 12, v17, vcc
	v_lshrrev_b32_e32 v24, 8, v17
	v_cmp_ne_u32_e32 vcc, 1, v58
	v_cndmask_b32_e32 v24, 12, v24, vcc
	v_lshlrev_b16_e32 v24, 8, v24
	v_or_b32_sdwa v23, v23, v24 dst_sel:DWORD dst_unused:UNUSED_PAD src0_sel:BYTE_0 src1_sel:DWORD
	v_lshrrev_b32_e32 v24, 24, v17
	v_cmp_ne_u32_e32 vcc, 3, v58
	v_cndmask_b32_e32 v24, 12, v24, vcc
	v_lshrrev_b32_e32 v25, 16, v17
	v_cmp_ne_u32_e32 vcc, 2, v58
	v_lshlrev_b16_e32 v24, 8, v24
	v_cndmask_b32_e32 v25, 12, v25, vcc
	v_or_b32_sdwa v24, v25, v24 dst_sel:WORD_1 dst_unused:UNUSED_PAD src0_sel:BYTE_0 src1_sel:DWORD
	v_cmp_ne_u32_e32 vcc, 20, v58
	v_or_b32_sdwa v23, v23, v24 dst_sel:DWORD dst_unused:UNUSED_PAD src0_sel:WORD_0 src1_sel:DWORD
	v_cndmask_b32_e32 v24, 12, v22, vcc
	v_lshrrev_b32_e32 v25, 8, v22
	v_cmp_ne_u32_e32 vcc, 21, v58
	v_cndmask_b32_e32 v25, 12, v25, vcc
	v_lshlrev_b16_e32 v25, 8, v25
	v_or_b32_sdwa v24, v24, v25 dst_sel:DWORD dst_unused:UNUSED_PAD src0_sel:BYTE_0 src1_sel:DWORD
	v_lshrrev_b32_e32 v25, 24, v22
	v_cmp_ne_u32_e32 vcc, 23, v58
	v_cndmask_b32_e32 v25, 12, v25, vcc
	v_lshrrev_b32_e32 v60, 16, v22
	v_cmp_ne_u32_e32 vcc, 22, v58
	v_lshlrev_b16_e32 v25, 8, v25
	v_cndmask_b32_e32 v60, 12, v60, vcc
	v_or_b32_sdwa v25, v60, v25 dst_sel:WORD_1 dst_unused:UNUSED_PAD src0_sel:BYTE_0 src1_sel:DWORD
	v_cmp_ne_u32_e32 vcc, 16, v58
	v_or_b32_sdwa v24, v24, v25 dst_sel:DWORD dst_unused:UNUSED_PAD src0_sel:WORD_0 src1_sel:DWORD
	;; [unrolled: 16-line block ×5, first 2 shown]
	v_cndmask_b32_e32 v62, 12, v18, vcc
	v_lshrrev_b32_e32 v63, 8, v18
	v_cmp_ne_u32_e32 vcc, 5, v58
	v_cndmask_b32_e32 v63, 12, v63, vcc
	v_lshlrev_b16_e32 v63, 8, v63
	v_or_b32_sdwa v62, v62, v63 dst_sel:DWORD dst_unused:UNUSED_PAD src0_sel:BYTE_0 src1_sel:DWORD
	v_lshrrev_b32_e32 v63, 24, v18
	v_cmp_ne_u32_e32 vcc, 7, v58
	v_cndmask_b32_e32 v63, 12, v63, vcc
	v_lshrrev_b32_e32 v64, 16, v18
	v_cmp_ne_u32_e32 vcc, 6, v58
	v_lshlrev_b16_e32 v63, 8, v63
	v_cndmask_b32_e32 v58, 12, v64, vcc
	v_and_b32_e32 v59, 0x1000, v27
	v_or_b32_sdwa v58, v58, v63 dst_sel:WORD_1 dst_unused:UNUSED_PAD src0_sel:BYTE_0 src1_sel:DWORD
	v_or_b32_sdwa v58, v62, v58 dst_sel:DWORD dst_unused:UNUSED_PAD src0_sel:WORD_0 src1_sel:DWORD
	v_cmp_eq_u32_e32 vcc, 0, v59
	v_cndmask_b32_e32 v17, v23, v17, vcc
	v_cndmask_b32_e32 v18, v58, v18, vcc
	v_cndmask_b32_e32 v19, v61, v19, vcc
	v_cndmask_b32_e32 v20, v60, v20, vcc
	v_cndmask_b32_e32 v21, v25, v21, vcc
	v_cndmask_b32_e32 v22, v24, v22, vcc
	v_cmp_ne_u32_e32 vcc, 0, v56
	v_cndmask_b32_e32 v23, 13, v17, vcc
	v_lshrrev_b32_e32 v24, 8, v17
	v_cmp_ne_u32_e32 vcc, 1, v56
	v_cndmask_b32_e32 v24, 13, v24, vcc
	v_lshlrev_b16_e32 v24, 8, v24
	v_or_b32_sdwa v23, v23, v24 dst_sel:DWORD dst_unused:UNUSED_PAD src0_sel:BYTE_0 src1_sel:DWORD
	v_lshrrev_b32_e32 v24, 24, v17
	v_cmp_ne_u32_e32 vcc, 3, v56
	v_cndmask_b32_e32 v24, 13, v24, vcc
	v_lshrrev_b32_e32 v25, 16, v17
	v_cmp_ne_u32_e32 vcc, 2, v56
	v_lshlrev_b16_e32 v24, 8, v24
	v_cndmask_b32_e32 v25, 13, v25, vcc
	v_or_b32_sdwa v24, v25, v24 dst_sel:WORD_1 dst_unused:UNUSED_PAD src0_sel:BYTE_0 src1_sel:DWORD
	v_cmp_ne_u32_e32 vcc, 20, v56
	v_or_b32_sdwa v23, v23, v24 dst_sel:DWORD dst_unused:UNUSED_PAD src0_sel:WORD_0 src1_sel:DWORD
	v_cndmask_b32_e32 v24, 13, v22, vcc
	v_lshrrev_b32_e32 v25, 8, v22
	v_cmp_ne_u32_e32 vcc, 21, v56
	v_cndmask_b32_e32 v25, 13, v25, vcc
	v_lshlrev_b16_e32 v25, 8, v25
	v_or_b32_sdwa v24, v24, v25 dst_sel:DWORD dst_unused:UNUSED_PAD src0_sel:BYTE_0 src1_sel:DWORD
	v_lshrrev_b32_e32 v25, 24, v22
	v_cmp_ne_u32_e32 vcc, 23, v56
	v_cndmask_b32_e32 v25, 13, v25, vcc
	v_lshrrev_b32_e32 v58, 16, v22
	v_cmp_ne_u32_e32 vcc, 22, v56
	v_lshlrev_b16_e32 v25, 8, v25
	v_cndmask_b32_e32 v58, 13, v58, vcc
	v_or_b32_sdwa v25, v58, v25 dst_sel:WORD_1 dst_unused:UNUSED_PAD src0_sel:BYTE_0 src1_sel:DWORD
	v_cmp_ne_u32_e32 vcc, 16, v56
	v_or_b32_sdwa v24, v24, v25 dst_sel:DWORD dst_unused:UNUSED_PAD src0_sel:WORD_0 src1_sel:DWORD
	;; [unrolled: 16-line block ×5, first 2 shown]
	v_cndmask_b32_e32 v60, 13, v18, vcc
	v_lshrrev_b32_e32 v61, 8, v18
	v_cmp_ne_u32_e32 vcc, 5, v56
	v_cndmask_b32_e32 v61, 13, v61, vcc
	v_lshlrev_b16_e32 v61, 8, v61
	v_or_b32_sdwa v60, v60, v61 dst_sel:DWORD dst_unused:UNUSED_PAD src0_sel:BYTE_0 src1_sel:DWORD
	v_lshrrev_b32_e32 v61, 24, v18
	v_cmp_ne_u32_e32 vcc, 7, v56
	v_cndmask_b32_e32 v61, 13, v61, vcc
	v_lshrrev_b32_e32 v62, 16, v18
	v_cmp_ne_u32_e32 vcc, 6, v56
	v_lshlrev_b16_e32 v61, 8, v61
	v_cndmask_b32_e32 v56, 13, v62, vcc
	v_and_b32_e32 v57, 0x2000, v27
	v_or_b32_sdwa v56, v56, v61 dst_sel:WORD_1 dst_unused:UNUSED_PAD src0_sel:BYTE_0 src1_sel:DWORD
	v_or_b32_sdwa v56, v60, v56 dst_sel:DWORD dst_unused:UNUSED_PAD src0_sel:WORD_0 src1_sel:DWORD
	v_cmp_eq_u32_e32 vcc, 0, v57
	v_cndmask_b32_e32 v17, v23, v17, vcc
	v_cndmask_b32_e32 v18, v56, v18, vcc
	;; [unrolled: 1-line block ×6, first 2 shown]
	v_cmp_ne_u32_e32 vcc, 0, v54
	v_cndmask_b32_e32 v23, 14, v17, vcc
	v_lshrrev_b32_e32 v24, 8, v17
	v_cmp_ne_u32_e32 vcc, 1, v54
	v_cndmask_b32_e32 v24, 14, v24, vcc
	v_lshlrev_b16_e32 v24, 8, v24
	v_or_b32_sdwa v23, v23, v24 dst_sel:DWORD dst_unused:UNUSED_PAD src0_sel:BYTE_0 src1_sel:DWORD
	v_lshrrev_b32_e32 v24, 24, v17
	v_cmp_ne_u32_e32 vcc, 3, v54
	v_cndmask_b32_e32 v24, 14, v24, vcc
	v_lshrrev_b32_e32 v25, 16, v17
	v_cmp_ne_u32_e32 vcc, 2, v54
	v_lshlrev_b16_e32 v24, 8, v24
	v_cndmask_b32_e32 v25, 14, v25, vcc
	v_or_b32_sdwa v24, v25, v24 dst_sel:WORD_1 dst_unused:UNUSED_PAD src0_sel:BYTE_0 src1_sel:DWORD
	v_cmp_ne_u32_e32 vcc, 20, v54
	v_or_b32_sdwa v23, v23, v24 dst_sel:DWORD dst_unused:UNUSED_PAD src0_sel:WORD_0 src1_sel:DWORD
	v_cndmask_b32_e32 v24, 14, v22, vcc
	v_lshrrev_b32_e32 v25, 8, v22
	v_cmp_ne_u32_e32 vcc, 21, v54
	v_cndmask_b32_e32 v25, 14, v25, vcc
	v_lshlrev_b16_e32 v25, 8, v25
	v_or_b32_sdwa v24, v24, v25 dst_sel:DWORD dst_unused:UNUSED_PAD src0_sel:BYTE_0 src1_sel:DWORD
	v_lshrrev_b32_e32 v25, 24, v22
	v_cmp_ne_u32_e32 vcc, 23, v54
	v_cndmask_b32_e32 v25, 14, v25, vcc
	v_lshrrev_b32_e32 v56, 16, v22
	v_cmp_ne_u32_e32 vcc, 22, v54
	v_lshlrev_b16_e32 v25, 8, v25
	v_cndmask_b32_e32 v56, 14, v56, vcc
	v_or_b32_sdwa v25, v56, v25 dst_sel:WORD_1 dst_unused:UNUSED_PAD src0_sel:BYTE_0 src1_sel:DWORD
	v_cmp_ne_u32_e32 vcc, 16, v54
	v_or_b32_sdwa v24, v24, v25 dst_sel:DWORD dst_unused:UNUSED_PAD src0_sel:WORD_0 src1_sel:DWORD
	;; [unrolled: 16-line block ×5, first 2 shown]
	v_cndmask_b32_e32 v58, 14, v18, vcc
	v_lshrrev_b32_e32 v59, 8, v18
	v_cmp_ne_u32_e32 vcc, 5, v54
	v_cndmask_b32_e32 v59, 14, v59, vcc
	v_lshlrev_b16_e32 v59, 8, v59
	v_or_b32_sdwa v58, v58, v59 dst_sel:DWORD dst_unused:UNUSED_PAD src0_sel:BYTE_0 src1_sel:DWORD
	v_lshrrev_b32_e32 v59, 24, v18
	v_cmp_ne_u32_e32 vcc, 7, v54
	v_cndmask_b32_e32 v59, 14, v59, vcc
	v_lshrrev_b32_e32 v60, 16, v18
	v_cmp_ne_u32_e32 vcc, 6, v54
	v_lshlrev_b16_e32 v59, 8, v59
	v_cndmask_b32_e32 v54, 14, v60, vcc
	v_and_b32_e32 v55, 0x4000, v27
	v_or_b32_sdwa v54, v54, v59 dst_sel:WORD_1 dst_unused:UNUSED_PAD src0_sel:BYTE_0 src1_sel:DWORD
	v_or_b32_sdwa v54, v58, v54 dst_sel:DWORD dst_unused:UNUSED_PAD src0_sel:WORD_0 src1_sel:DWORD
	v_cmp_eq_u32_e32 vcc, 0, v55
	v_cndmask_b32_e32 v17, v23, v17, vcc
	v_cndmask_b32_e32 v18, v54, v18, vcc
	;; [unrolled: 1-line block ×6, first 2 shown]
	v_cmp_ne_u32_e32 vcc, 0, v52
	v_cndmask_b32_e32 v23, 15, v17, vcc
	v_lshrrev_b32_e32 v24, 8, v17
	v_cmp_ne_u32_e32 vcc, 1, v52
	v_cndmask_b32_e32 v24, 15, v24, vcc
	v_lshlrev_b16_e32 v24, 8, v24
	v_or_b32_sdwa v23, v23, v24 dst_sel:DWORD dst_unused:UNUSED_PAD src0_sel:BYTE_0 src1_sel:DWORD
	v_lshrrev_b32_e32 v24, 24, v17
	v_cmp_ne_u32_e32 vcc, 3, v52
	v_cndmask_b32_e32 v24, 15, v24, vcc
	v_lshrrev_b32_e32 v25, 16, v17
	v_cmp_ne_u32_e32 vcc, 2, v52
	v_lshlrev_b16_e32 v24, 8, v24
	v_cndmask_b32_e32 v25, 15, v25, vcc
	v_or_b32_sdwa v24, v25, v24 dst_sel:WORD_1 dst_unused:UNUSED_PAD src0_sel:BYTE_0 src1_sel:DWORD
	v_cmp_ne_u32_e32 vcc, 20, v52
	v_or_b32_sdwa v23, v23, v24 dst_sel:DWORD dst_unused:UNUSED_PAD src0_sel:WORD_0 src1_sel:DWORD
	v_cndmask_b32_e32 v24, 15, v22, vcc
	v_lshrrev_b32_e32 v25, 8, v22
	v_cmp_ne_u32_e32 vcc, 21, v52
	v_cndmask_b32_e32 v25, 15, v25, vcc
	v_lshlrev_b16_e32 v25, 8, v25
	v_or_b32_sdwa v24, v24, v25 dst_sel:DWORD dst_unused:UNUSED_PAD src0_sel:BYTE_0 src1_sel:DWORD
	v_lshrrev_b32_e32 v25, 24, v22
	v_cmp_ne_u32_e32 vcc, 23, v52
	v_cndmask_b32_e32 v25, 15, v25, vcc
	v_lshrrev_b32_e32 v54, 16, v22
	v_cmp_ne_u32_e32 vcc, 22, v52
	v_lshlrev_b16_e32 v25, 8, v25
	v_cndmask_b32_e32 v54, 15, v54, vcc
	v_or_b32_sdwa v25, v54, v25 dst_sel:WORD_1 dst_unused:UNUSED_PAD src0_sel:BYTE_0 src1_sel:DWORD
	v_cmp_ne_u32_e32 vcc, 16, v52
	v_or_b32_sdwa v24, v24, v25 dst_sel:DWORD dst_unused:UNUSED_PAD src0_sel:WORD_0 src1_sel:DWORD
	;; [unrolled: 16-line block ×5, first 2 shown]
	v_cndmask_b32_e32 v56, 15, v18, vcc
	v_lshrrev_b32_e32 v57, 8, v18
	v_cmp_ne_u32_e32 vcc, 5, v52
	v_cndmask_b32_e32 v57, 15, v57, vcc
	v_lshlrev_b16_e32 v57, 8, v57
	v_or_b32_sdwa v56, v56, v57 dst_sel:DWORD dst_unused:UNUSED_PAD src0_sel:BYTE_0 src1_sel:DWORD
	v_lshrrev_b32_e32 v57, 24, v18
	v_cmp_ne_u32_e32 vcc, 7, v52
	v_cndmask_b32_e32 v57, 15, v57, vcc
	v_lshrrev_b32_e32 v58, 16, v18
	v_cmp_ne_u32_e32 vcc, 6, v52
	v_lshlrev_b16_e32 v57, 8, v57
	v_cndmask_b32_e32 v52, 15, v58, vcc
	v_and_b32_e32 v53, 0x8000, v27
	v_or_b32_sdwa v52, v52, v57 dst_sel:WORD_1 dst_unused:UNUSED_PAD src0_sel:BYTE_0 src1_sel:DWORD
	v_or_b32_sdwa v52, v56, v52 dst_sel:DWORD dst_unused:UNUSED_PAD src0_sel:WORD_0 src1_sel:DWORD
	v_cmp_eq_u32_e32 vcc, 0, v53
	v_cndmask_b32_e32 v17, v23, v17, vcc
	v_cndmask_b32_e32 v18, v52, v18, vcc
	v_cndmask_b32_e32 v19, v55, v19, vcc
	v_cndmask_b32_e32 v20, v54, v20, vcc
	v_cndmask_b32_e32 v21, v25, v21, vcc
	v_cndmask_b32_e32 v22, v24, v22, vcc
	v_cmp_ne_u32_e32 vcc, 0, v50
	v_cndmask_b32_e32 v23, 16, v17, vcc
	v_lshrrev_b32_e32 v24, 8, v17
	v_cmp_ne_u32_e32 vcc, 1, v50
	v_cndmask_b32_e32 v24, 16, v24, vcc
	v_lshlrev_b16_e32 v24, 8, v24
	v_or_b32_sdwa v23, v23, v24 dst_sel:DWORD dst_unused:UNUSED_PAD src0_sel:BYTE_0 src1_sel:DWORD
	v_lshrrev_b32_e32 v24, 24, v17
	v_cmp_ne_u32_e32 vcc, 3, v50
	v_cndmask_b32_e32 v24, 16, v24, vcc
	v_lshrrev_b32_e32 v25, 16, v17
	v_cmp_ne_u32_e32 vcc, 2, v50
	v_lshlrev_b16_e32 v24, 8, v24
	v_cndmask_b32_e32 v25, 16, v25, vcc
	v_or_b32_sdwa v24, v25, v24 dst_sel:WORD_1 dst_unused:UNUSED_PAD src0_sel:BYTE_0 src1_sel:DWORD
	v_cmp_ne_u32_e32 vcc, 20, v50
	v_or_b32_sdwa v23, v23, v24 dst_sel:DWORD dst_unused:UNUSED_PAD src0_sel:WORD_0 src1_sel:DWORD
	v_cndmask_b32_e32 v24, 16, v22, vcc
	v_lshrrev_b32_e32 v25, 8, v22
	v_cmp_ne_u32_e32 vcc, 21, v50
	v_cndmask_b32_e32 v25, 16, v25, vcc
	v_lshlrev_b16_e32 v25, 8, v25
	v_or_b32_sdwa v24, v24, v25 dst_sel:DWORD dst_unused:UNUSED_PAD src0_sel:BYTE_0 src1_sel:DWORD
	v_lshrrev_b32_e32 v25, 24, v22
	v_cmp_ne_u32_e32 vcc, 23, v50
	v_cndmask_b32_e32 v25, 16, v25, vcc
	v_lshrrev_b32_e32 v52, 16, v22
	v_cmp_ne_u32_e32 vcc, 22, v50
	v_lshlrev_b16_e32 v25, 8, v25
	v_cndmask_b32_e32 v52, 16, v52, vcc
	v_or_b32_sdwa v25, v52, v25 dst_sel:WORD_1 dst_unused:UNUSED_PAD src0_sel:BYTE_0 src1_sel:DWORD
	v_cmp_ne_u32_e32 vcc, 16, v50
	v_or_b32_sdwa v24, v24, v25 dst_sel:DWORD dst_unused:UNUSED_PAD src0_sel:WORD_0 src1_sel:DWORD
	;; [unrolled: 16-line block ×5, first 2 shown]
	v_cndmask_b32_e32 v54, 16, v18, vcc
	v_lshrrev_b32_e32 v55, 8, v18
	v_cmp_ne_u32_e32 vcc, 5, v50
	v_cndmask_b32_e32 v55, 16, v55, vcc
	v_lshlrev_b16_e32 v55, 8, v55
	v_or_b32_sdwa v54, v54, v55 dst_sel:DWORD dst_unused:UNUSED_PAD src0_sel:BYTE_0 src1_sel:DWORD
	v_lshrrev_b32_e32 v55, 24, v18
	v_cmp_ne_u32_e32 vcc, 7, v50
	v_cndmask_b32_e32 v55, 16, v55, vcc
	v_lshrrev_b32_e32 v56, 16, v18
	v_cmp_ne_u32_e32 vcc, 6, v50
	v_lshlrev_b16_e32 v55, 8, v55
	v_cndmask_b32_e32 v50, 16, v56, vcc
	v_and_b32_e32 v51, 0x10000, v27
	v_or_b32_sdwa v50, v50, v55 dst_sel:WORD_1 dst_unused:UNUSED_PAD src0_sel:BYTE_0 src1_sel:DWORD
	v_or_b32_sdwa v50, v54, v50 dst_sel:DWORD dst_unused:UNUSED_PAD src0_sel:WORD_0 src1_sel:DWORD
	v_cmp_eq_u32_e32 vcc, 0, v51
	v_cndmask_b32_e32 v17, v23, v17, vcc
	v_cndmask_b32_e32 v18, v50, v18, vcc
	;; [unrolled: 1-line block ×6, first 2 shown]
	v_cmp_ne_u32_e32 vcc, 0, v48
	v_cndmask_b32_e32 v23, 17, v17, vcc
	v_lshrrev_b32_e32 v24, 8, v17
	v_cmp_ne_u32_e32 vcc, 1, v48
	v_cndmask_b32_e32 v24, 17, v24, vcc
	v_lshlrev_b16_e32 v24, 8, v24
	v_or_b32_sdwa v23, v23, v24 dst_sel:DWORD dst_unused:UNUSED_PAD src0_sel:BYTE_0 src1_sel:DWORD
	v_lshrrev_b32_e32 v24, 24, v17
	v_cmp_ne_u32_e32 vcc, 3, v48
	v_cndmask_b32_e32 v24, 17, v24, vcc
	v_lshrrev_b32_e32 v25, 16, v17
	v_cmp_ne_u32_e32 vcc, 2, v48
	v_lshlrev_b16_e32 v24, 8, v24
	v_cndmask_b32_e32 v25, 17, v25, vcc
	v_or_b32_sdwa v24, v25, v24 dst_sel:WORD_1 dst_unused:UNUSED_PAD src0_sel:BYTE_0 src1_sel:DWORD
	v_cmp_ne_u32_e32 vcc, 20, v48
	v_or_b32_sdwa v23, v23, v24 dst_sel:DWORD dst_unused:UNUSED_PAD src0_sel:WORD_0 src1_sel:DWORD
	v_cndmask_b32_e32 v24, 17, v22, vcc
	v_lshrrev_b32_e32 v25, 8, v22
	v_cmp_ne_u32_e32 vcc, 21, v48
	v_cndmask_b32_e32 v25, 17, v25, vcc
	v_lshlrev_b16_e32 v25, 8, v25
	v_or_b32_sdwa v24, v24, v25 dst_sel:DWORD dst_unused:UNUSED_PAD src0_sel:BYTE_0 src1_sel:DWORD
	v_lshrrev_b32_e32 v25, 24, v22
	v_cmp_ne_u32_e32 vcc, 23, v48
	v_cndmask_b32_e32 v25, 17, v25, vcc
	v_lshrrev_b32_e32 v50, 16, v22
	v_cmp_ne_u32_e32 vcc, 22, v48
	v_lshlrev_b16_e32 v25, 8, v25
	v_cndmask_b32_e32 v50, 17, v50, vcc
	v_or_b32_sdwa v25, v50, v25 dst_sel:WORD_1 dst_unused:UNUSED_PAD src0_sel:BYTE_0 src1_sel:DWORD
	v_cmp_ne_u32_e32 vcc, 16, v48
	v_or_b32_sdwa v24, v24, v25 dst_sel:DWORD dst_unused:UNUSED_PAD src0_sel:WORD_0 src1_sel:DWORD
	v_cndmask_b32_e32 v25, 17, v21, vcc
	v_lshrrev_b32_e32 v50, 8, v21
	v_cmp_ne_u32_e32 vcc, 17, v48
	v_cndmask_b32_e32 v50, 17, v50, vcc
	v_lshlrev_b16_e32 v50, 8, v50
	v_or_b32_sdwa v25, v25, v50 dst_sel:DWORD dst_unused:UNUSED_PAD src0_sel:BYTE_0 src1_sel:DWORD
	v_lshrrev_b32_e32 v50, 24, v21
	v_cmp_ne_u32_e32 vcc, 19, v48
	v_cndmask_b32_e32 v50, 17, v50, vcc
	v_lshrrev_b32_e32 v51, 16, v21
	v_cmp_ne_u32_e32 vcc, 18, v48
	v_lshlrev_b16_e32 v50, 8, v50
	v_cndmask_b32_e32 v51, 17, v51, vcc
	v_or_b32_sdwa v50, v51, v50 dst_sel:WORD_1 dst_unused:UNUSED_PAD src0_sel:BYTE_0 src1_sel:DWORD
	v_cmp_ne_u32_e32 vcc, 12, v48
	v_or_b32_sdwa v25, v25, v50 dst_sel:DWORD dst_unused:UNUSED_PAD src0_sel:WORD_0 src1_sel:DWORD
	v_cndmask_b32_e32 v50, 17, v20, vcc
	v_lshrrev_b32_e32 v51, 8, v20
	v_cmp_ne_u32_e32 vcc, 13, v48
	v_cndmask_b32_e32 v51, 17, v51, vcc
	v_lshlrev_b16_e32 v51, 8, v51
	v_or_b32_sdwa v50, v50, v51 dst_sel:DWORD dst_unused:UNUSED_PAD src0_sel:BYTE_0 src1_sel:DWORD
	v_lshrrev_b32_e32 v51, 24, v20
	v_cmp_ne_u32_e32 vcc, 15, v48
	v_cndmask_b32_e32 v51, 17, v51, vcc
	v_lshrrev_b32_e32 v52, 16, v20
	v_cmp_ne_u32_e32 vcc, 14, v48
	v_lshlrev_b16_e32 v51, 8, v51
	v_cndmask_b32_e32 v52, 17, v52, vcc
	v_or_b32_sdwa v51, v52, v51 dst_sel:WORD_1 dst_unused:UNUSED_PAD src0_sel:BYTE_0 src1_sel:DWORD
	v_cmp_ne_u32_e32 vcc, 8, v48
	v_or_b32_sdwa v50, v50, v51 dst_sel:DWORD dst_unused:UNUSED_PAD src0_sel:WORD_0 src1_sel:DWORD
	v_cndmask_b32_e32 v51, 17, v19, vcc
	v_lshrrev_b32_e32 v52, 8, v19
	v_cmp_ne_u32_e32 vcc, 9, v48
	v_cndmask_b32_e32 v52, 17, v52, vcc
	v_lshlrev_b16_e32 v52, 8, v52
	v_or_b32_sdwa v51, v51, v52 dst_sel:DWORD dst_unused:UNUSED_PAD src0_sel:BYTE_0 src1_sel:DWORD
	v_lshrrev_b32_e32 v52, 24, v19
	v_cmp_ne_u32_e32 vcc, 11, v48
	v_cndmask_b32_e32 v52, 17, v52, vcc
	v_lshrrev_b32_e32 v53, 16, v19
	v_cmp_ne_u32_e32 vcc, 10, v48
	v_lshlrev_b16_e32 v52, 8, v52
	v_cndmask_b32_e32 v53, 17, v53, vcc
	v_or_b32_sdwa v52, v53, v52 dst_sel:WORD_1 dst_unused:UNUSED_PAD src0_sel:BYTE_0 src1_sel:DWORD
	v_cmp_ne_u32_e32 vcc, 4, v48
	v_or_b32_sdwa v51, v51, v52 dst_sel:DWORD dst_unused:UNUSED_PAD src0_sel:WORD_0 src1_sel:DWORD
	v_cndmask_b32_e32 v52, 17, v18, vcc
	v_lshrrev_b32_e32 v53, 8, v18
	v_cmp_ne_u32_e32 vcc, 5, v48
	v_cndmask_b32_e32 v53, 17, v53, vcc
	v_lshlrev_b16_e32 v53, 8, v53
	v_or_b32_sdwa v52, v52, v53 dst_sel:DWORD dst_unused:UNUSED_PAD src0_sel:BYTE_0 src1_sel:DWORD
	v_lshrrev_b32_e32 v53, 24, v18
	v_cmp_ne_u32_e32 vcc, 7, v48
	v_cndmask_b32_e32 v53, 17, v53, vcc
	v_lshrrev_b32_e32 v54, 16, v18
	v_cmp_ne_u32_e32 vcc, 6, v48
	v_lshlrev_b16_e32 v53, 8, v53
	v_cndmask_b32_e32 v48, 17, v54, vcc
	v_and_b32_e32 v49, 0x20000, v27
	v_or_b32_sdwa v48, v48, v53 dst_sel:WORD_1 dst_unused:UNUSED_PAD src0_sel:BYTE_0 src1_sel:DWORD
	v_or_b32_sdwa v48, v52, v48 dst_sel:DWORD dst_unused:UNUSED_PAD src0_sel:WORD_0 src1_sel:DWORD
	v_cmp_eq_u32_e32 vcc, 0, v49
	v_cndmask_b32_e32 v17, v23, v17, vcc
	v_cndmask_b32_e32 v18, v48, v18, vcc
	;; [unrolled: 1-line block ×6, first 2 shown]
	v_cmp_ne_u32_e32 vcc, 0, v46
	v_cndmask_b32_e32 v23, 18, v17, vcc
	v_lshrrev_b32_e32 v24, 8, v17
	v_cmp_ne_u32_e32 vcc, 1, v46
	v_cndmask_b32_e32 v24, 18, v24, vcc
	v_lshlrev_b16_e32 v24, 8, v24
	v_or_b32_sdwa v23, v23, v24 dst_sel:DWORD dst_unused:UNUSED_PAD src0_sel:BYTE_0 src1_sel:DWORD
	v_lshrrev_b32_e32 v24, 24, v17
	v_cmp_ne_u32_e32 vcc, 3, v46
	v_cndmask_b32_e32 v24, 18, v24, vcc
	v_lshrrev_b32_e32 v25, 16, v17
	v_cmp_ne_u32_e32 vcc, 2, v46
	v_lshlrev_b16_e32 v24, 8, v24
	v_cndmask_b32_e32 v25, 18, v25, vcc
	v_or_b32_sdwa v24, v25, v24 dst_sel:WORD_1 dst_unused:UNUSED_PAD src0_sel:BYTE_0 src1_sel:DWORD
	v_cmp_ne_u32_e32 vcc, 20, v46
	v_or_b32_sdwa v23, v23, v24 dst_sel:DWORD dst_unused:UNUSED_PAD src0_sel:WORD_0 src1_sel:DWORD
	v_cndmask_b32_e32 v24, 18, v22, vcc
	v_lshrrev_b32_e32 v25, 8, v22
	v_cmp_ne_u32_e32 vcc, 21, v46
	v_cndmask_b32_e32 v25, 18, v25, vcc
	v_lshlrev_b16_e32 v25, 8, v25
	v_or_b32_sdwa v24, v24, v25 dst_sel:DWORD dst_unused:UNUSED_PAD src0_sel:BYTE_0 src1_sel:DWORD
	v_lshrrev_b32_e32 v25, 24, v22
	v_cmp_ne_u32_e32 vcc, 23, v46
	v_cndmask_b32_e32 v25, 18, v25, vcc
	v_lshrrev_b32_e32 v48, 16, v22
	v_cmp_ne_u32_e32 vcc, 22, v46
	v_lshlrev_b16_e32 v25, 8, v25
	v_cndmask_b32_e32 v48, 18, v48, vcc
	v_or_b32_sdwa v25, v48, v25 dst_sel:WORD_1 dst_unused:UNUSED_PAD src0_sel:BYTE_0 src1_sel:DWORD
	v_cmp_ne_u32_e32 vcc, 16, v46
	v_or_b32_sdwa v24, v24, v25 dst_sel:DWORD dst_unused:UNUSED_PAD src0_sel:WORD_0 src1_sel:DWORD
	;; [unrolled: 16-line block ×5, first 2 shown]
	v_cndmask_b32_e32 v50, 18, v18, vcc
	v_lshrrev_b32_e32 v51, 8, v18
	v_cmp_ne_u32_e32 vcc, 5, v46
	v_cndmask_b32_e32 v51, 18, v51, vcc
	v_lshlrev_b16_e32 v51, 8, v51
	v_or_b32_sdwa v50, v50, v51 dst_sel:DWORD dst_unused:UNUSED_PAD src0_sel:BYTE_0 src1_sel:DWORD
	v_lshrrev_b32_e32 v51, 24, v18
	v_cmp_ne_u32_e32 vcc, 7, v46
	v_cndmask_b32_e32 v51, 18, v51, vcc
	v_lshrrev_b32_e32 v52, 16, v18
	v_cmp_ne_u32_e32 vcc, 6, v46
	v_lshlrev_b16_e32 v51, 8, v51
	v_cndmask_b32_e32 v46, 18, v52, vcc
	v_and_b32_e32 v47, 0x40000, v27
	v_or_b32_sdwa v46, v46, v51 dst_sel:WORD_1 dst_unused:UNUSED_PAD src0_sel:BYTE_0 src1_sel:DWORD
	v_or_b32_sdwa v46, v50, v46 dst_sel:DWORD dst_unused:UNUSED_PAD src0_sel:WORD_0 src1_sel:DWORD
	v_cmp_eq_u32_e32 vcc, 0, v47
	v_cndmask_b32_e32 v17, v23, v17, vcc
	v_cndmask_b32_e32 v18, v46, v18, vcc
	;; [unrolled: 1-line block ×6, first 2 shown]
	v_cmp_ne_u32_e32 vcc, 0, v44
	v_cndmask_b32_e32 v23, 19, v17, vcc
	v_lshrrev_b32_e32 v24, 8, v17
	v_cmp_ne_u32_e32 vcc, 1, v44
	v_cndmask_b32_e32 v24, 19, v24, vcc
	v_lshlrev_b16_e32 v24, 8, v24
	v_or_b32_sdwa v23, v23, v24 dst_sel:DWORD dst_unused:UNUSED_PAD src0_sel:BYTE_0 src1_sel:DWORD
	v_lshrrev_b32_e32 v24, 24, v17
	v_cmp_ne_u32_e32 vcc, 3, v44
	v_cndmask_b32_e32 v24, 19, v24, vcc
	v_lshrrev_b32_e32 v25, 16, v17
	v_cmp_ne_u32_e32 vcc, 2, v44
	v_lshlrev_b16_e32 v24, 8, v24
	v_cndmask_b32_e32 v25, 19, v25, vcc
	v_or_b32_sdwa v24, v25, v24 dst_sel:WORD_1 dst_unused:UNUSED_PAD src0_sel:BYTE_0 src1_sel:DWORD
	v_cmp_ne_u32_e32 vcc, 20, v44
	v_or_b32_sdwa v23, v23, v24 dst_sel:DWORD dst_unused:UNUSED_PAD src0_sel:WORD_0 src1_sel:DWORD
	v_cndmask_b32_e32 v24, 19, v22, vcc
	v_lshrrev_b32_e32 v25, 8, v22
	v_cmp_ne_u32_e32 vcc, 21, v44
	v_cndmask_b32_e32 v25, 19, v25, vcc
	v_lshlrev_b16_e32 v25, 8, v25
	v_or_b32_sdwa v24, v24, v25 dst_sel:DWORD dst_unused:UNUSED_PAD src0_sel:BYTE_0 src1_sel:DWORD
	v_lshrrev_b32_e32 v25, 24, v22
	v_cmp_ne_u32_e32 vcc, 23, v44
	v_cndmask_b32_e32 v25, 19, v25, vcc
	v_lshrrev_b32_e32 v46, 16, v22
	v_cmp_ne_u32_e32 vcc, 22, v44
	v_lshlrev_b16_e32 v25, 8, v25
	v_cndmask_b32_e32 v46, 19, v46, vcc
	v_or_b32_sdwa v25, v46, v25 dst_sel:WORD_1 dst_unused:UNUSED_PAD src0_sel:BYTE_0 src1_sel:DWORD
	v_cmp_ne_u32_e32 vcc, 16, v44
	v_or_b32_sdwa v24, v24, v25 dst_sel:DWORD dst_unused:UNUSED_PAD src0_sel:WORD_0 src1_sel:DWORD
	;; [unrolled: 16-line block ×5, first 2 shown]
	v_cndmask_b32_e32 v48, 19, v18, vcc
	v_lshrrev_b32_e32 v49, 8, v18
	v_cmp_ne_u32_e32 vcc, 5, v44
	v_cndmask_b32_e32 v49, 19, v49, vcc
	v_lshlrev_b16_e32 v49, 8, v49
	v_or_b32_sdwa v48, v48, v49 dst_sel:DWORD dst_unused:UNUSED_PAD src0_sel:BYTE_0 src1_sel:DWORD
	v_lshrrev_b32_e32 v49, 24, v18
	v_cmp_ne_u32_e32 vcc, 7, v44
	v_cndmask_b32_e32 v49, 19, v49, vcc
	v_lshrrev_b32_e32 v50, 16, v18
	v_cmp_ne_u32_e32 vcc, 6, v44
	v_lshlrev_b16_e32 v49, 8, v49
	v_cndmask_b32_e32 v44, 19, v50, vcc
	v_and_b32_e32 v45, 0x80000, v27
	v_or_b32_sdwa v44, v44, v49 dst_sel:WORD_1 dst_unused:UNUSED_PAD src0_sel:BYTE_0 src1_sel:DWORD
	v_or_b32_sdwa v44, v48, v44 dst_sel:DWORD dst_unused:UNUSED_PAD src0_sel:WORD_0 src1_sel:DWORD
	v_cmp_eq_u32_e32 vcc, 0, v45
	v_cndmask_b32_e32 v17, v23, v17, vcc
	v_cndmask_b32_e32 v18, v44, v18, vcc
	v_cndmask_b32_e32 v19, v47, v19, vcc
	v_cndmask_b32_e32 v20, v46, v20, vcc
	v_cndmask_b32_e32 v21, v25, v21, vcc
	v_cndmask_b32_e32 v22, v24, v22, vcc
	v_cmp_ne_u32_e32 vcc, 0, v42
	v_cndmask_b32_e32 v23, 20, v17, vcc
	v_lshrrev_b32_e32 v24, 8, v17
	v_cmp_ne_u32_e32 vcc, 1, v42
	v_cndmask_b32_e32 v24, 20, v24, vcc
	v_lshlrev_b16_e32 v24, 8, v24
	v_or_b32_sdwa v23, v23, v24 dst_sel:DWORD dst_unused:UNUSED_PAD src0_sel:BYTE_0 src1_sel:DWORD
	v_lshrrev_b32_e32 v24, 24, v17
	v_cmp_ne_u32_e32 vcc, 3, v42
	v_cndmask_b32_e32 v24, 20, v24, vcc
	v_lshrrev_b32_e32 v25, 16, v17
	v_cmp_ne_u32_e32 vcc, 2, v42
	v_lshlrev_b16_e32 v24, 8, v24
	v_cndmask_b32_e32 v25, 20, v25, vcc
	v_or_b32_sdwa v24, v25, v24 dst_sel:WORD_1 dst_unused:UNUSED_PAD src0_sel:BYTE_0 src1_sel:DWORD
	v_cmp_ne_u32_e32 vcc, 20, v42
	v_or_b32_sdwa v23, v23, v24 dst_sel:DWORD dst_unused:UNUSED_PAD src0_sel:WORD_0 src1_sel:DWORD
	v_cndmask_b32_e32 v24, 20, v22, vcc
	v_lshrrev_b32_e32 v25, 8, v22
	v_cmp_ne_u32_e32 vcc, 21, v42
	v_cndmask_b32_e32 v25, 20, v25, vcc
	v_lshlrev_b16_e32 v25, 8, v25
	v_or_b32_sdwa v24, v24, v25 dst_sel:DWORD dst_unused:UNUSED_PAD src0_sel:BYTE_0 src1_sel:DWORD
	v_lshrrev_b32_e32 v25, 24, v22
	v_cmp_ne_u32_e32 vcc, 23, v42
	v_cndmask_b32_e32 v25, 20, v25, vcc
	v_lshrrev_b32_e32 v44, 16, v22
	v_cmp_ne_u32_e32 vcc, 22, v42
	v_lshlrev_b16_e32 v25, 8, v25
	v_cndmask_b32_e32 v44, 20, v44, vcc
	v_or_b32_sdwa v25, v44, v25 dst_sel:WORD_1 dst_unused:UNUSED_PAD src0_sel:BYTE_0 src1_sel:DWORD
	v_cmp_ne_u32_e32 vcc, 16, v42
	v_or_b32_sdwa v24, v24, v25 dst_sel:DWORD dst_unused:UNUSED_PAD src0_sel:WORD_0 src1_sel:DWORD
	;; [unrolled: 16-line block ×5, first 2 shown]
	v_cndmask_b32_e32 v46, 20, v18, vcc
	v_lshrrev_b32_e32 v47, 8, v18
	v_cmp_ne_u32_e32 vcc, 5, v42
	v_cndmask_b32_e32 v47, 20, v47, vcc
	v_lshlrev_b16_e32 v47, 8, v47
	v_or_b32_sdwa v46, v46, v47 dst_sel:DWORD dst_unused:UNUSED_PAD src0_sel:BYTE_0 src1_sel:DWORD
	v_lshrrev_b32_e32 v47, 24, v18
	v_cmp_ne_u32_e32 vcc, 7, v42
	v_cndmask_b32_e32 v47, 20, v47, vcc
	v_lshrrev_b32_e32 v48, 16, v18
	v_cmp_ne_u32_e32 vcc, 6, v42
	v_lshlrev_b16_e32 v47, 8, v47
	v_cndmask_b32_e32 v42, 20, v48, vcc
	v_and_b32_e32 v43, 0x100000, v27
	v_or_b32_sdwa v42, v42, v47 dst_sel:WORD_1 dst_unused:UNUSED_PAD src0_sel:BYTE_0 src1_sel:DWORD
	v_or_b32_sdwa v42, v46, v42 dst_sel:DWORD dst_unused:UNUSED_PAD src0_sel:WORD_0 src1_sel:DWORD
	v_cmp_eq_u32_e32 vcc, 0, v43
	v_cndmask_b32_e32 v17, v23, v17, vcc
	v_cndmask_b32_e32 v18, v42, v18, vcc
	;; [unrolled: 1-line block ×6, first 2 shown]
	v_cmp_ne_u32_e32 vcc, 0, v40
	v_cndmask_b32_e32 v23, 21, v17, vcc
	v_lshrrev_b32_e32 v24, 8, v17
	v_cmp_ne_u32_e32 vcc, 1, v40
	v_cndmask_b32_e32 v24, 21, v24, vcc
	v_lshlrev_b16_e32 v24, 8, v24
	v_or_b32_sdwa v23, v23, v24 dst_sel:DWORD dst_unused:UNUSED_PAD src0_sel:BYTE_0 src1_sel:DWORD
	v_lshrrev_b32_e32 v24, 24, v17
	v_cmp_ne_u32_e32 vcc, 3, v40
	v_cndmask_b32_e32 v24, 21, v24, vcc
	v_lshrrev_b32_e32 v25, 16, v17
	v_cmp_ne_u32_e32 vcc, 2, v40
	v_lshlrev_b16_e32 v24, 8, v24
	v_cndmask_b32_e32 v25, 21, v25, vcc
	v_or_b32_sdwa v24, v25, v24 dst_sel:WORD_1 dst_unused:UNUSED_PAD src0_sel:BYTE_0 src1_sel:DWORD
	v_cmp_ne_u32_e32 vcc, 20, v40
	v_or_b32_sdwa v23, v23, v24 dst_sel:DWORD dst_unused:UNUSED_PAD src0_sel:WORD_0 src1_sel:DWORD
	v_cndmask_b32_e32 v24, 21, v22, vcc
	v_lshrrev_b32_e32 v25, 8, v22
	v_cmp_ne_u32_e32 vcc, 21, v40
	v_cndmask_b32_e32 v25, 21, v25, vcc
	v_lshlrev_b16_e32 v25, 8, v25
	v_or_b32_sdwa v24, v24, v25 dst_sel:DWORD dst_unused:UNUSED_PAD src0_sel:BYTE_0 src1_sel:DWORD
	v_lshrrev_b32_e32 v25, 24, v22
	v_cmp_ne_u32_e32 vcc, 23, v40
	v_cndmask_b32_e32 v25, 21, v25, vcc
	v_lshrrev_b32_e32 v42, 16, v22
	v_cmp_ne_u32_e32 vcc, 22, v40
	v_lshlrev_b16_e32 v25, 8, v25
	v_cndmask_b32_e32 v42, 21, v42, vcc
	v_or_b32_sdwa v25, v42, v25 dst_sel:WORD_1 dst_unused:UNUSED_PAD src0_sel:BYTE_0 src1_sel:DWORD
	v_cmp_ne_u32_e32 vcc, 16, v40
	v_or_b32_sdwa v24, v24, v25 dst_sel:DWORD dst_unused:UNUSED_PAD src0_sel:WORD_0 src1_sel:DWORD
	;; [unrolled: 16-line block ×5, first 2 shown]
	v_cndmask_b32_e32 v44, 21, v18, vcc
	v_lshrrev_b32_e32 v45, 8, v18
	v_cmp_ne_u32_e32 vcc, 5, v40
	v_cndmask_b32_e32 v45, 21, v45, vcc
	v_lshlrev_b16_e32 v45, 8, v45
	v_or_b32_sdwa v44, v44, v45 dst_sel:DWORD dst_unused:UNUSED_PAD src0_sel:BYTE_0 src1_sel:DWORD
	v_lshrrev_b32_e32 v45, 24, v18
	v_cmp_ne_u32_e32 vcc, 7, v40
	v_cndmask_b32_e32 v45, 21, v45, vcc
	v_lshrrev_b32_e32 v46, 16, v18
	v_cmp_ne_u32_e32 vcc, 6, v40
	v_lshlrev_b16_e32 v45, 8, v45
	v_cndmask_b32_e32 v40, 21, v46, vcc
	v_and_b32_e32 v41, 0x200000, v27
	v_or_b32_sdwa v40, v40, v45 dst_sel:WORD_1 dst_unused:UNUSED_PAD src0_sel:BYTE_0 src1_sel:DWORD
	v_or_b32_sdwa v40, v44, v40 dst_sel:DWORD dst_unused:UNUSED_PAD src0_sel:WORD_0 src1_sel:DWORD
	v_cmp_eq_u32_e32 vcc, 0, v41
	v_cndmask_b32_e32 v17, v23, v17, vcc
	v_cndmask_b32_e32 v18, v40, v18, vcc
	;; [unrolled: 1-line block ×6, first 2 shown]
	v_cmp_ne_u32_e32 vcc, 0, v34
	v_cndmask_b32_e32 v23, 22, v17, vcc
	v_lshrrev_b32_e32 v24, 8, v17
	v_cmp_ne_u32_e32 vcc, 1, v34
	v_cndmask_b32_e32 v24, 22, v24, vcc
	v_lshlrev_b16_e32 v24, 8, v24
	v_or_b32_sdwa v23, v23, v24 dst_sel:DWORD dst_unused:UNUSED_PAD src0_sel:BYTE_0 src1_sel:DWORD
	v_lshrrev_b32_e32 v24, 24, v17
	v_cmp_ne_u32_e32 vcc, 3, v34
	v_cndmask_b32_e32 v24, 22, v24, vcc
	v_lshrrev_b32_e32 v25, 16, v17
	v_cmp_ne_u32_e32 vcc, 2, v34
	v_lshlrev_b16_e32 v24, 8, v24
	v_cndmask_b32_e32 v25, 22, v25, vcc
	v_or_b32_sdwa v24, v25, v24 dst_sel:WORD_1 dst_unused:UNUSED_PAD src0_sel:BYTE_0 src1_sel:DWORD
	v_cmp_ne_u32_e32 vcc, 20, v34
	v_or_b32_sdwa v23, v23, v24 dst_sel:DWORD dst_unused:UNUSED_PAD src0_sel:WORD_0 src1_sel:DWORD
	v_cndmask_b32_e32 v24, 22, v22, vcc
	v_lshrrev_b32_e32 v25, 8, v22
	v_cmp_ne_u32_e32 vcc, 21, v34
	v_cndmask_b32_e32 v25, 22, v25, vcc
	v_lshlrev_b16_e32 v25, 8, v25
	v_or_b32_sdwa v24, v24, v25 dst_sel:DWORD dst_unused:UNUSED_PAD src0_sel:BYTE_0 src1_sel:DWORD
	v_lshrrev_b32_e32 v25, 24, v22
	v_cmp_ne_u32_e32 vcc, 23, v34
	v_cndmask_b32_e32 v25, 22, v25, vcc
	v_lshrrev_b32_e32 v40, 16, v22
	v_cmp_ne_u32_e32 vcc, 22, v34
	v_lshlrev_b16_e32 v25, 8, v25
	v_cndmask_b32_e32 v40, 22, v40, vcc
	v_or_b32_sdwa v25, v40, v25 dst_sel:WORD_1 dst_unused:UNUSED_PAD src0_sel:BYTE_0 src1_sel:DWORD
	v_cmp_ne_u32_e32 vcc, 16, v34
	v_or_b32_sdwa v24, v24, v25 dst_sel:DWORD dst_unused:UNUSED_PAD src0_sel:WORD_0 src1_sel:DWORD
	;; [unrolled: 16-line block ×5, first 2 shown]
	v_cndmask_b32_e32 v42, 22, v18, vcc
	v_lshrrev_b32_e32 v43, 8, v18
	v_cmp_ne_u32_e32 vcc, 5, v34
	v_cndmask_b32_e32 v43, 22, v43, vcc
	v_lshlrev_b16_e32 v43, 8, v43
	v_or_b32_sdwa v42, v42, v43 dst_sel:DWORD dst_unused:UNUSED_PAD src0_sel:BYTE_0 src1_sel:DWORD
	v_lshrrev_b32_e32 v43, 24, v18
	v_cmp_ne_u32_e32 vcc, 7, v34
	v_cndmask_b32_e32 v43, 22, v43, vcc
	v_lshrrev_b32_e32 v44, 16, v18
	v_cmp_ne_u32_e32 vcc, 6, v34
	v_lshlrev_b16_e32 v43, 8, v43
	v_cndmask_b32_e32 v34, 22, v44, vcc
	v_and_b32_e32 v35, 0x400000, v27
	v_or_b32_sdwa v34, v34, v43 dst_sel:WORD_1 dst_unused:UNUSED_PAD src0_sel:BYTE_0 src1_sel:DWORD
	v_or_b32_sdwa v34, v42, v34 dst_sel:DWORD dst_unused:UNUSED_PAD src0_sel:WORD_0 src1_sel:DWORD
	v_cmp_eq_u32_e32 vcc, 0, v35
	v_cndmask_b32_e32 v17, v23, v17, vcc
	v_cndmask_b32_e32 v23, v34, v18, vcc
	;; [unrolled: 1-line block ×6, first 2 shown]
	v_cmp_ne_u32_e32 vcc, 0, v26
	v_cndmask_b32_e32 v18, 23, v17, vcc
	v_lshrrev_b32_e32 v19, 8, v17
	v_cmp_ne_u32_e32 vcc, 1, v26
	v_cndmask_b32_e32 v19, 23, v19, vcc
	v_lshlrev_b16_e32 v19, 8, v19
	v_or_b32_sdwa v18, v18, v19 dst_sel:DWORD dst_unused:UNUSED_PAD src0_sel:BYTE_0 src1_sel:DWORD
	v_lshrrev_b32_e32 v19, 24, v17
	v_cmp_ne_u32_e32 vcc, 3, v26
	v_cndmask_b32_e32 v19, 23, v19, vcc
	v_lshrrev_b32_e32 v20, 16, v17
	v_cmp_ne_u32_e32 vcc, 2, v26
	v_lshlrev_b16_e32 v19, 8, v19
	v_cndmask_b32_e32 v20, 23, v20, vcc
	v_or_b32_sdwa v19, v20, v19 dst_sel:WORD_1 dst_unused:UNUSED_PAD src0_sel:BYTE_0 src1_sel:DWORD
	v_cmp_ne_u32_e32 vcc, 20, v26
	v_or_b32_sdwa v18, v18, v19 dst_sel:DWORD dst_unused:UNUSED_PAD src0_sel:WORD_0 src1_sel:DWORD
	v_cndmask_b32_e32 v19, 23, v40, vcc
	v_lshrrev_b32_e32 v20, 8, v40
	v_cmp_ne_u32_e32 vcc, 21, v26
	v_cndmask_b32_e32 v20, 23, v20, vcc
	v_lshlrev_b16_e32 v20, 8, v20
	v_or_b32_sdwa v19, v19, v20 dst_sel:DWORD dst_unused:UNUSED_PAD src0_sel:BYTE_0 src1_sel:DWORD
	v_lshrrev_b32_e32 v20, 24, v40
	v_cmp_ne_u32_e32 vcc, 23, v26
	v_cndmask_b32_e32 v20, 23, v20, vcc
	v_lshrrev_b32_e32 v21, 16, v40
	v_cmp_ne_u32_e32 vcc, 22, v26
	v_lshlrev_b16_e32 v20, 8, v20
	v_cndmask_b32_e32 v21, 23, v21, vcc
	v_or_b32_sdwa v20, v21, v20 dst_sel:WORD_1 dst_unused:UNUSED_PAD src0_sel:BYTE_0 src1_sel:DWORD
	v_cmp_ne_u32_e32 vcc, 16, v26
	v_or_b32_sdwa v41, v19, v20 dst_sel:DWORD dst_unused:UNUSED_PAD src0_sel:WORD_0 src1_sel:DWORD
	;; [unrolled: 16-line block ×5, first 2 shown]
	v_cndmask_b32_e32 v19, 23, v23, vcc
	v_lshrrev_b32_e32 v20, 8, v23
	v_cmp_ne_u32_e32 vcc, 5, v26
	v_cndmask_b32_e32 v20, 23, v20, vcc
	v_lshlrev_b16_e32 v20, 8, v20
	v_or_b32_sdwa v19, v19, v20 dst_sel:DWORD dst_unused:UNUSED_PAD src0_sel:BYTE_0 src1_sel:DWORD
	v_lshrrev_b32_e32 v20, 24, v23
	v_cmp_ne_u32_e32 vcc, 7, v26
	v_cndmask_b32_e32 v20, 23, v20, vcc
	v_lshrrev_b32_e32 v21, 16, v23
	v_cmp_ne_u32_e32 vcc, 6, v26
	v_lshlrev_b16_e32 v20, 8, v20
	v_cndmask_b32_e32 v21, 23, v21, vcc
	v_and_b32_e32 v27, 0x800000, v27
	v_or_b32_sdwa v20, v21, v20 dst_sel:WORD_1 dst_unused:UNUSED_PAD src0_sel:BYTE_0 src1_sel:DWORD
	v_or_b32_sdwa v19, v19, v20 dst_sel:DWORD dst_unused:UNUSED_PAD src0_sel:WORD_0 src1_sel:DWORD
	v_cmp_eq_u32_e32 vcc, 0, v27
	v_cndmask_b32_e32 v18, v18, v17, vcc
	v_cndmask_b32_e32 v19, v19, v23, vcc
	v_lshrrev_b64 v[20:21], 24, v[18:19]
	v_cndmask_b32_e32 v21, v24, v34, vcc
	v_cndmask_b32_e32 v22, v22, v35, vcc
	v_lshrrev_b64 v[23:24], 24, v[21:22]
	;; [unrolled: 3-line block ×3, first 2 shown]
	s_mov_b32 s8, 0
	s_mov_b32 s10, 0x55555555
	v_lshrrev_b32_e32 v62, 8, v18
	v_lshrrev_b32_e32 v27, 24, v19
	;; [unrolled: 1-line block ×12, first 2 shown]
	v_mov_b32_e32 v17, 0
	s_mov_b64 s[6:7], 0
	s_mov_b32 s9, 0x3fd00000
	s_mov_b32 s11, 0x3fd55555
	v_mov_b32_e32 v74, 0xd0
	v_mov_b32_e32 v75, 3
	s_mov_b64 s[12:13], 0
	s_branch .LBB2_322
.LBB2_320:                              ;   in Loop: Header=BB2_322 Depth=1
	s_or_b64 exec, exec, s[16:17]
	v_mov_b32_e32 v79, v76
	v_mov_b32_e32 v76, v78
.LBB2_321:                              ;   in Loop: Header=BB2_322 Depth=1
	s_or_b64 exec, exec, s[14:15]
	v_lshl_add_u32 v88, v76, 3, v74
	buffer_load_dword v77, v88, s[0:3], 0 offen offset:68
	buffer_load_dword v78, v88, s[0:3], 0 offen offset:128
	;; [unrolled: 1-line block ×3, first 2 shown]
	v_lshl_add_u32 v89, v79, 3, v74
	buffer_load_dword v80, v88, s[0:3], 0 offen
	buffer_load_dword v83, v89, s[0:3], 0 offen offset:68
	buffer_load_dword v84, v89, s[0:3], 0 offen offset:128
	;; [unrolled: 1-line block ×4, first 2 shown]
	buffer_load_dword v86, v89, s[0:3], 0 offen
	buffer_load_dword v87, v89, s[0:3], 0 offen offset:4
	buffer_load_dword v85, v89, s[0:3], 0 offen offset:132
	;; [unrolled: 1-line block ×3, first 2 shown]
	s_waitcnt vmcnt(32)
	v_add_f64 v[40:41], v[40:41], v[44:45]
	s_waitcnt vmcnt(24)
	v_add_f64 v[44:45], v[46:47], v[48:49]
	;; [unrolled: 2-line block ×3, first 2 shown]
	s_add_u32 s12, s12, 1
	s_addc_u32 s13, s13, 0
	v_cmp_eq_u64_e32 vcc, s[12:13], v[16:17]
	s_or_b64 s[6:7], vcc, s[6:7]
	v_add_f64 v[40:41], v[40:41], v[42:43]
	s_waitcnt vmcnt(18)
	v_add_f64 v[42:43], v[44:45], v[56:57]
	s_waitcnt vmcnt(12)
	v_add_f64 v[44:45], v[46:47], v[60:61]
	v_add_f64 v[34:35], v[40:41], v[34:35]
	;; [unrolled: 1-line block ×4, first 2 shown]
	v_fma_f64 v[44:45], v[34:35], s[8:9], -v[0:1]
	v_fma_f64 v[40:41], v[40:41], s[8:9], -v[4:5]
	;; [unrolled: 1-line block ×3, first 2 shown]
	v_mul_f64 v[42:43], v[32:33], v[44:45]
	s_waitcnt vmcnt(5)
	v_add_f64 v[44:45], v[82:83], -v[4:5]
	s_waitcnt vmcnt(4)
	v_add_f64 v[48:49], v[80:81], -v[0:1]
	;; [unrolled: 2-line block ×3, first 2 shown]
	v_add_f64 v[46:47], v[76:77], -v[4:5]
	s_waitcnt vmcnt(1)
	v_add_f64 v[52:53], v[84:85], -v[6:7]
	s_waitcnt vmcnt(0)
	v_add_f64 v[54:55], v[78:79], -v[6:7]
	v_mul_f64 v[56:57], v[30:31], v[44:45]
	v_fma_f64 v[58:59], -v[32:33], v[48:49], v[42:43]
	v_fma_f64 v[84:85], v[32:33], v[48:49], v[42:43]
	v_mul_f64 v[76:77], v[32:33], v[50:51]
	v_mul_f64 v[46:47], v[30:31], v[46:47]
	v_add_f64 v[78:79], v[34:35], v[52:53]
	v_fma_f64 v[80:81], v[32:33], v[50:51], v[42:43]
	v_add_f64 v[82:83], v[34:35], v[54:55]
	v_fma_f64 v[50:51], v[32:33], v[50:51], -v[42:43]
	v_fma_f64 v[86:87], v[30:31], v[40:41], v[56:57]
	v_add_f64 v[88:89], v[52:53], v[54:55]
	v_fma_f64 v[94:95], v[32:33], v[48:49], -v[76:77]
	v_fma_f64 v[60:61], v[30:31], v[40:41], v[46:47]
	v_mul_f64 v[90:91], v[78:79], 0.5
	v_fma_f64 v[80:81], v[36:37], v[80:81], v[0:1]
	v_mul_f64 v[92:93], v[82:83], 0.5
	v_fma_f64 v[44:45], v[30:31], v[44:45], v[46:47]
	v_fma_f64 v[78:79], v[78:79], 0.5, 0
	v_mul_f64 v[96:97], v[88:89], 0.5
	v_fma_f64 v[98:99], v[32:33], v[48:49], v[76:77]
	v_mul_f64 v[58:59], v[58:59], v[60:61]
	v_fma_f64 v[60:61], v[38:39], v[60:61], v[4:5]
	v_fma_f64 v[80:81], v[80:81], v[90:91], 0
	v_mul_f64 v[48:49], v[32:33], v[48:49]
	ds_write2_b64 v67, v[56:57], v[46:47] offset0:10 offset1:12
	v_fma_f64 v[78:79], v[82:83], 0.5, v[78:79]
	ds_write2_b64 v67, v[52:53], v[54:55] offset0:20 offset1:22
	v_fma_f64 v[82:83], v[36:37], v[98:99], v[0:1]
	v_fma_f64 v[50:51], v[50:51], v[86:87], v[58:59]
	;; [unrolled: 1-line block ×4, first 2 shown]
	v_fma_f64 v[86:87], v[90:91], 0.5, v[6:7]
	ds_write2_b64 v67, v[76:77], v[48:49] offset1:2
	v_fma_f64 v[78:79], v[88:89], 0.5, v[78:79]
	v_fma_f64 v[50:51], v[94:95], v[44:45], v[50:51]
	v_fma_f64 v[94:95], v[92:93], 0.5, v[6:7]
	v_fma_f64 v[84:85], v[84:85], v[90:91], 0
	v_fma_f64 v[86:87], v[90:91], v[86:87], 0
	;; [unrolled: 1-line block ×3, first 2 shown]
	v_fma_f64 v[90:91], v[96:97], 0.5, v[6:7]
	v_fma_f64 v[58:59], v[58:59], v[92:93], v[80:81]
	v_mul_f64 v[50:51], v[50:51], 0.5
	v_fma_f64 v[60:61], v[60:61], v[92:93], v[84:85]
	v_fma_f64 v[80:81], v[92:93], v[94:95], v[86:87]
	;; [unrolled: 1-line block ×3, first 2 shown]
	v_mul_f64 v[50:51], v[50:51], s[10:11]
	v_fma_f64 v[44:45], v[44:45], v[96:97], v[60:61]
	v_fma_f64 v[60:61], v[96:97], v[90:91], v[80:81]
	;; [unrolled: 1-line block ×10, first 2 shown]
	s_andn2_b64 exec, exec, s[6:7]
	s_cbranch_execz .LBB2_347
.LBB2_322:                              ; =>This Inner Loop Header: Depth=1
	s_cmp_eq_u32 s12, 1
	s_cselect_b64 vcc, -1, 0
	s_cmp_eq_u32 s12, 2
	v_cndmask_b32_e32 v34, v18, v62, vcc
	s_cselect_b64 vcc, -1, 0
	s_cmp_eq_u32 s12, 3
	v_cndmask_b32_sdwa v34, v34, v18, vcc dst_sel:DWORD dst_unused:UNUSED_PAD src0_sel:DWORD src1_sel:WORD_1
	s_cselect_b64 vcc, -1, 0
	s_cmp_eq_u32 s12, 4
	v_cndmask_b32_e32 v34, v34, v20, vcc
	s_cselect_b64 vcc, -1, 0
	s_cmp_eq_u32 s12, 5
	v_cndmask_b32_e32 v34, v34, v19, vcc
	;; [unrolled: 3-line block ×19, first 2 shown]
	s_cselect_b64 vcc, -1, 0
	s_cmp_eq_u32 s12, 23
	v_cndmask_b32_sdwa v34, v34, v25, vcc dst_sel:DWORD dst_unused:UNUSED_PAD src0_sel:DWORD src1_sel:WORD_1
	s_cselect_b64 vcc, -1, 0
	v_cndmask_b32_sdwa v79, v34, v25, vcc dst_sel:DWORD dst_unused:UNUSED_PAD src0_sel:DWORD src1_sel:BYTE_3
	v_bfe_u32 v76, v79, 2, 6
	v_cmp_lt_i32_e32 vcc, 1, v76
                                        ; implicit-def: $vgpr80
                                        ; implicit-def: $vgpr46
                                        ; implicit-def: $vgpr77
                                        ; implicit-def: $vgpr47
                                        ; implicit-def: $vgpr78
                                        ; implicit-def: $vgpr48
                                        ; implicit-def: $vgpr49
	s_and_saveexec_b64 s[14:15], vcc
	s_xor_b64 s[14:15], exec, s[14:15]
	s_cbranch_execz .LBB2_334
; %bb.323:                              ;   in Loop: Header=BB2_322 Depth=1
	v_cmp_lt_i32_e32 vcc, 2, v76
                                        ; implicit-def: $vgpr80
                                        ; implicit-def: $vgpr46
                                        ; implicit-def: $vgpr77
                                        ; implicit-def: $vgpr47
                                        ; implicit-def: $vgpr78
                                        ; implicit-def: $vgpr48
                                        ; implicit-def: $vgpr49
	s_and_saveexec_b64 s[16:17], vcc
	s_xor_b64 s[16:17], exec, s[16:17]
	s_cbranch_execz .LBB2_331
; %bb.324:                              ;   in Loop: Header=BB2_322 Depth=1
	;; [unrolled: 12-line block ×3, first 2 shown]
	v_cmp_ne_u32_e32 vcc, 4, v76
	s_and_saveexec_b64 s[20:21], vcc
	s_xor_b64 s[20:21], exec, s[20:21]
	s_or_saveexec_b64 s[20:21], s[20:21]
	v_mov_b32_e32 v76, 4
	v_mov_b32_e32 v78, 6
	;; [unrolled: 1-line block ×8, first 2 shown]
	s_xor_b64 exec, exec, s[20:21]
; %bb.326:                              ;   in Loop: Header=BB2_322 Depth=1
	v_mov_b32_e32 v76, 0
	v_mov_b32_e32 v78, 1
	;; [unrolled: 1-line block ×8, first 2 shown]
; %bb.327:                              ;   in Loop: Header=BB2_322 Depth=1
	s_or_b64 exec, exec, s[20:21]
.LBB2_328:                              ;   in Loop: Header=BB2_322 Depth=1
	s_andn2_saveexec_b64 s[18:19], s[18:19]
; %bb.329:                              ;   in Loop: Header=BB2_322 Depth=1
	v_mov_b32_e32 v76, 2
	v_mov_b32_e32 v78, 3
	;; [unrolled: 1-line block ×8, first 2 shown]
; %bb.330:                              ;   in Loop: Header=BB2_322 Depth=1
	s_or_b64 exec, exec, s[18:19]
.LBB2_331:                              ;   in Loop: Header=BB2_322 Depth=1
	s_andn2_saveexec_b64 s[16:17], s[16:17]
; %bb.332:                              ;   in Loop: Header=BB2_322 Depth=1
	v_mov_b32_e32 v76, 0
	v_mov_b32_e32 v78, 4
	;; [unrolled: 1-line block ×8, first 2 shown]
; %bb.333:                              ;   in Loop: Header=BB2_322 Depth=1
	s_or_b64 exec, exec, s[16:17]
.LBB2_334:                              ;   in Loop: Header=BB2_322 Depth=1
	s_andn2_saveexec_b64 s[14:15], s[14:15]
	s_cbranch_execz .LBB2_338
; %bb.335:                              ;   in Loop: Header=BB2_322 Depth=1
	v_cmp_lt_i32_e32 vcc, 0, v76
	v_mov_b32_e32 v78, 2
	v_mov_b32_e32 v77, 6
	;; [unrolled: 1-line block ×7, first 2 shown]
	s_and_saveexec_b64 s[16:17], vcc
; %bb.336:                              ;   in Loop: Header=BB2_322 Depth=1
	v_mov_b32_e32 v76, 1
	v_mov_b32_e32 v78, 5
	;; [unrolled: 1-line block ×8, first 2 shown]
; %bb.337:                              ;   in Loop: Header=BB2_322 Depth=1
	s_or_b64 exec, exec, s[16:17]
.LBB2_338:                              ;   in Loop: Header=BB2_322 Depth=1
	s_or_b64 exec, exec, s[14:15]
	v_lshl_add_u32 v60, v76, 3, v74
	buffer_load_dword v40, v49, s[0:3], 0 offen
	buffer_load_dword v41, v49, s[0:3], 0 offen offset:4
	buffer_load_dword v44, v48, s[0:3], 0 offen
	buffer_load_dword v45, v48, s[0:3], 0 offen offset:4
	;; [unrolled: 2-line block ×4, first 2 shown]
	v_lshl_add_u32 v81, v78, 3, v74
	v_lshl_add_u32 v82, v77, 3, v74
	;; [unrolled: 1-line block ×3, first 2 shown]
	buffer_load_dword v46, v60, s[0:3], 0 offen offset:64
	buffer_load_dword v47, v60, s[0:3], 0 offen offset:68
	;; [unrolled: 1-line block ×15, first 2 shown]
                                        ; kill: killed $vgpr60
                                        ; kill: killed $vgpr81
                                        ; kill: killed $vgpr83
	buffer_load_dword v60, v82, s[0:3], 0 offen offset:128
	v_and_b32_sdwa v81, v79, v75 dst_sel:DWORD dst_unused:UNUSED_PAD src0_sel:BYTE_0 src1_sel:DWORD
	v_cmp_lt_i32_e32 vcc, 1, v81
                                        ; implicit-def: $vgpr79
	s_and_saveexec_b64 s[14:15], vcc
	s_xor_b64 s[14:15], exec, s[14:15]
	s_cbranch_execz .LBB2_344
; %bb.339:                              ;   in Loop: Header=BB2_322 Depth=1
	v_cmp_lt_i32_e32 vcc, 2, v81
	s_and_saveexec_b64 s[16:17], vcc
	s_xor_b64 s[16:17], exec, s[16:17]
; %bb.340:                              ;   in Loop: Header=BB2_322 Depth=1
                                        ; implicit-def: $vgpr77
; %bb.341:                              ;   in Loop: Header=BB2_322 Depth=1
	s_or_saveexec_b64 s[16:17], s[16:17]
	v_mov_b32_e32 v79, v80
	s_xor_b64 exec, exec, s[16:17]
; %bb.342:                              ;   in Loop: Header=BB2_322 Depth=1
	v_mov_b32_e32 v79, v77
	v_mov_b32_e32 v76, v80
; %bb.343:                              ;   in Loop: Header=BB2_322 Depth=1
	s_or_b64 exec, exec, s[16:17]
                                        ; implicit-def: $vgpr78
                                        ; implicit-def: $vgpr77
                                        ; implicit-def: $vgpr81
.LBB2_344:                              ;   in Loop: Header=BB2_322 Depth=1
	s_andn2_saveexec_b64 s[14:15], s[14:15]
	s_cbranch_execz .LBB2_321
; %bb.345:                              ;   in Loop: Header=BB2_322 Depth=1
	v_cmp_eq_u32_e32 vcc, 1, v81
	s_and_saveexec_b64 s[16:17], vcc
	s_cbranch_execz .LBB2_320
; %bb.346:                              ;   in Loop: Header=BB2_322 Depth=1
	v_mov_b32_e32 v76, v78
	v_mov_b32_e32 v78, v77
	s_branch .LBB2_320
.LBB2_347:
	s_or_b64 exec, exec, s[6:7]
	v_mul_f64 v[0:1], v[30:31], v[40:41]
	ds_write2_b64 v67, v[42:43], v[0:1] offset0:1 offset1:11
	ds_write_b64 v67, v[34:35] offset:168
.LBB2_348:
	s_or_b64 exec, exec, s[4:5]
	v_lshlrev_b64 v[0:1], 5, v[28:29]
	v_mov_b32_e32 v2, s37
	v_add_co_u32_e32 v0, vcc, s36, v0
	v_addc_co_u32_e32 v1, vcc, v2, v1, vcc
	global_store_dwordx4 v[0:1], v[8:11], off
	global_store_dwordx4 v[0:1], v[12:15], off offset:16
.LBB2_349:
	s_endpgm
	.section	.rodata,"a",@progbits
	.p2align	6, 0x0
	.amdhsa_kernel _ZN4RAJA6policy3hip4impl18forallp_hip_kernelINS1_8hip_execINS_17iteration_mapping6DirectENS_3hip11IndexGlobalILNS_9named_dimE0ELi64ELi0EEENS7_40AvoidDeviceMaxThreadOccupancyConcretizerINS7_34FractionOffsetOccupancyConcretizerINS_8FractionImLm1ELm1EEELln1EEEEELb1EEENS_9Iterators16numeric_iteratorIllPlEEZN8rajaperf4apps13INTSC_HEXRECT17runHipVariantImplILm64EEEvNSM_9VariantIDEEUllE0_lNS_4expt15ForallParamPackIJEEES6_SA_TnNSt9enable_ifIXaasr3std10is_base_ofINS5_10DirectBaseET4_EE5valuegtsrT5_10block_sizeLi0EEmE4typeELm64EEEvT1_T0_T2_T3_
		.amdhsa_group_segment_fixed_size 15872
		.amdhsa_private_segment_fixed_size 416
		.amdhsa_kernarg_size 92
		.amdhsa_user_sgpr_count 6
		.amdhsa_user_sgpr_private_segment_buffer 1
		.amdhsa_user_sgpr_dispatch_ptr 0
		.amdhsa_user_sgpr_queue_ptr 0
		.amdhsa_user_sgpr_kernarg_segment_ptr 1
		.amdhsa_user_sgpr_dispatch_id 0
		.amdhsa_user_sgpr_flat_scratch_init 0
		.amdhsa_user_sgpr_private_segment_size 0
		.amdhsa_uses_dynamic_stack 0
		.amdhsa_system_sgpr_private_segment_wavefront_offset 1
		.amdhsa_system_sgpr_workgroup_id_x 1
		.amdhsa_system_sgpr_workgroup_id_y 0
		.amdhsa_system_sgpr_workgroup_id_z 0
		.amdhsa_system_sgpr_workgroup_info 0
		.amdhsa_system_vgpr_workitem_id 0
		.amdhsa_next_free_vgpr 132
		.amdhsa_next_free_sgpr 98
		.amdhsa_reserve_vcc 1
		.amdhsa_reserve_flat_scratch 0
		.amdhsa_float_round_mode_32 0
		.amdhsa_float_round_mode_16_64 0
		.amdhsa_float_denorm_mode_32 3
		.amdhsa_float_denorm_mode_16_64 3
		.amdhsa_dx10_clamp 1
		.amdhsa_ieee_mode 1
		.amdhsa_fp16_overflow 0
		.amdhsa_exception_fp_ieee_invalid_op 0
		.amdhsa_exception_fp_denorm_src 0
		.amdhsa_exception_fp_ieee_div_zero 0
		.amdhsa_exception_fp_ieee_overflow 0
		.amdhsa_exception_fp_ieee_underflow 0
		.amdhsa_exception_fp_ieee_inexact 0
		.amdhsa_exception_int_div_zero 0
	.end_amdhsa_kernel
	.section	.text._ZN4RAJA6policy3hip4impl18forallp_hip_kernelINS1_8hip_execINS_17iteration_mapping6DirectENS_3hip11IndexGlobalILNS_9named_dimE0ELi64ELi0EEENS7_40AvoidDeviceMaxThreadOccupancyConcretizerINS7_34FractionOffsetOccupancyConcretizerINS_8FractionImLm1ELm1EEELln1EEEEELb1EEENS_9Iterators16numeric_iteratorIllPlEEZN8rajaperf4apps13INTSC_HEXRECT17runHipVariantImplILm64EEEvNSM_9VariantIDEEUllE0_lNS_4expt15ForallParamPackIJEEES6_SA_TnNSt9enable_ifIXaasr3std10is_base_ofINS5_10DirectBaseET4_EE5valuegtsrT5_10block_sizeLi0EEmE4typeELm64EEEvT1_T0_T2_T3_,"axG",@progbits,_ZN4RAJA6policy3hip4impl18forallp_hip_kernelINS1_8hip_execINS_17iteration_mapping6DirectENS_3hip11IndexGlobalILNS_9named_dimE0ELi64ELi0EEENS7_40AvoidDeviceMaxThreadOccupancyConcretizerINS7_34FractionOffsetOccupancyConcretizerINS_8FractionImLm1ELm1EEELln1EEEEELb1EEENS_9Iterators16numeric_iteratorIllPlEEZN8rajaperf4apps13INTSC_HEXRECT17runHipVariantImplILm64EEEvNSM_9VariantIDEEUllE0_lNS_4expt15ForallParamPackIJEEES6_SA_TnNSt9enable_ifIXaasr3std10is_base_ofINS5_10DirectBaseET4_EE5valuegtsrT5_10block_sizeLi0EEmE4typeELm64EEEvT1_T0_T2_T3_,comdat
.Lfunc_end2:
	.size	_ZN4RAJA6policy3hip4impl18forallp_hip_kernelINS1_8hip_execINS_17iteration_mapping6DirectENS_3hip11IndexGlobalILNS_9named_dimE0ELi64ELi0EEENS7_40AvoidDeviceMaxThreadOccupancyConcretizerINS7_34FractionOffsetOccupancyConcretizerINS_8FractionImLm1ELm1EEELln1EEEEELb1EEENS_9Iterators16numeric_iteratorIllPlEEZN8rajaperf4apps13INTSC_HEXRECT17runHipVariantImplILm64EEEvNSM_9VariantIDEEUllE0_lNS_4expt15ForallParamPackIJEEES6_SA_TnNSt9enable_ifIXaasr3std10is_base_ofINS5_10DirectBaseET4_EE5valuegtsrT5_10block_sizeLi0EEmE4typeELm64EEEvT1_T0_T2_T3_, .Lfunc_end2-_ZN4RAJA6policy3hip4impl18forallp_hip_kernelINS1_8hip_execINS_17iteration_mapping6DirectENS_3hip11IndexGlobalILNS_9named_dimE0ELi64ELi0EEENS7_40AvoidDeviceMaxThreadOccupancyConcretizerINS7_34FractionOffsetOccupancyConcretizerINS_8FractionImLm1ELm1EEELln1EEEEELb1EEENS_9Iterators16numeric_iteratorIllPlEEZN8rajaperf4apps13INTSC_HEXRECT17runHipVariantImplILm64EEEvNSM_9VariantIDEEUllE0_lNS_4expt15ForallParamPackIJEEES6_SA_TnNSt9enable_ifIXaasr3std10is_base_ofINS5_10DirectBaseET4_EE5valuegtsrT5_10block_sizeLi0EEmE4typeELm64EEEvT1_T0_T2_T3_
                                        ; -- End function
	.set _ZN4RAJA6policy3hip4impl18forallp_hip_kernelINS1_8hip_execINS_17iteration_mapping6DirectENS_3hip11IndexGlobalILNS_9named_dimE0ELi64ELi0EEENS7_40AvoidDeviceMaxThreadOccupancyConcretizerINS7_34FractionOffsetOccupancyConcretizerINS_8FractionImLm1ELm1EEELln1EEEEELb1EEENS_9Iterators16numeric_iteratorIllPlEEZN8rajaperf4apps13INTSC_HEXRECT17runHipVariantImplILm64EEEvNSM_9VariantIDEEUllE0_lNS_4expt15ForallParamPackIJEEES6_SA_TnNSt9enable_ifIXaasr3std10is_base_ofINS5_10DirectBaseET4_EE5valuegtsrT5_10block_sizeLi0EEmE4typeELm64EEEvT1_T0_T2_T3_.num_vgpr, 132
	.set _ZN4RAJA6policy3hip4impl18forallp_hip_kernelINS1_8hip_execINS_17iteration_mapping6DirectENS_3hip11IndexGlobalILNS_9named_dimE0ELi64ELi0EEENS7_40AvoidDeviceMaxThreadOccupancyConcretizerINS7_34FractionOffsetOccupancyConcretizerINS_8FractionImLm1ELm1EEELln1EEEEELb1EEENS_9Iterators16numeric_iteratorIllPlEEZN8rajaperf4apps13INTSC_HEXRECT17runHipVariantImplILm64EEEvNSM_9VariantIDEEUllE0_lNS_4expt15ForallParamPackIJEEES6_SA_TnNSt9enable_ifIXaasr3std10is_base_ofINS5_10DirectBaseET4_EE5valuegtsrT5_10block_sizeLi0EEmE4typeELm64EEEvT1_T0_T2_T3_.num_agpr, 0
	.set _ZN4RAJA6policy3hip4impl18forallp_hip_kernelINS1_8hip_execINS_17iteration_mapping6DirectENS_3hip11IndexGlobalILNS_9named_dimE0ELi64ELi0EEENS7_40AvoidDeviceMaxThreadOccupancyConcretizerINS7_34FractionOffsetOccupancyConcretizerINS_8FractionImLm1ELm1EEELln1EEEEELb1EEENS_9Iterators16numeric_iteratorIllPlEEZN8rajaperf4apps13INTSC_HEXRECT17runHipVariantImplILm64EEEvNSM_9VariantIDEEUllE0_lNS_4expt15ForallParamPackIJEEES6_SA_TnNSt9enable_ifIXaasr3std10is_base_ofINS5_10DirectBaseET4_EE5valuegtsrT5_10block_sizeLi0EEmE4typeELm64EEEvT1_T0_T2_T3_.numbered_sgpr, 52
	.set _ZN4RAJA6policy3hip4impl18forallp_hip_kernelINS1_8hip_execINS_17iteration_mapping6DirectENS_3hip11IndexGlobalILNS_9named_dimE0ELi64ELi0EEENS7_40AvoidDeviceMaxThreadOccupancyConcretizerINS7_34FractionOffsetOccupancyConcretizerINS_8FractionImLm1ELm1EEELln1EEEEELb1EEENS_9Iterators16numeric_iteratorIllPlEEZN8rajaperf4apps13INTSC_HEXRECT17runHipVariantImplILm64EEEvNSM_9VariantIDEEUllE0_lNS_4expt15ForallParamPackIJEEES6_SA_TnNSt9enable_ifIXaasr3std10is_base_ofINS5_10DirectBaseET4_EE5valuegtsrT5_10block_sizeLi0EEmE4typeELm64EEEvT1_T0_T2_T3_.num_named_barrier, 0
	.set _ZN4RAJA6policy3hip4impl18forallp_hip_kernelINS1_8hip_execINS_17iteration_mapping6DirectENS_3hip11IndexGlobalILNS_9named_dimE0ELi64ELi0EEENS7_40AvoidDeviceMaxThreadOccupancyConcretizerINS7_34FractionOffsetOccupancyConcretizerINS_8FractionImLm1ELm1EEELln1EEEEELb1EEENS_9Iterators16numeric_iteratorIllPlEEZN8rajaperf4apps13INTSC_HEXRECT17runHipVariantImplILm64EEEvNSM_9VariantIDEEUllE0_lNS_4expt15ForallParamPackIJEEES6_SA_TnNSt9enable_ifIXaasr3std10is_base_ofINS5_10DirectBaseET4_EE5valuegtsrT5_10block_sizeLi0EEmE4typeELm64EEEvT1_T0_T2_T3_.private_seg_size, 416
	.set _ZN4RAJA6policy3hip4impl18forallp_hip_kernelINS1_8hip_execINS_17iteration_mapping6DirectENS_3hip11IndexGlobalILNS_9named_dimE0ELi64ELi0EEENS7_40AvoidDeviceMaxThreadOccupancyConcretizerINS7_34FractionOffsetOccupancyConcretizerINS_8FractionImLm1ELm1EEELln1EEEEELb1EEENS_9Iterators16numeric_iteratorIllPlEEZN8rajaperf4apps13INTSC_HEXRECT17runHipVariantImplILm64EEEvNSM_9VariantIDEEUllE0_lNS_4expt15ForallParamPackIJEEES6_SA_TnNSt9enable_ifIXaasr3std10is_base_ofINS5_10DirectBaseET4_EE5valuegtsrT5_10block_sizeLi0EEmE4typeELm64EEEvT1_T0_T2_T3_.uses_vcc, 1
	.set _ZN4RAJA6policy3hip4impl18forallp_hip_kernelINS1_8hip_execINS_17iteration_mapping6DirectENS_3hip11IndexGlobalILNS_9named_dimE0ELi64ELi0EEENS7_40AvoidDeviceMaxThreadOccupancyConcretizerINS7_34FractionOffsetOccupancyConcretizerINS_8FractionImLm1ELm1EEELln1EEEEELb1EEENS_9Iterators16numeric_iteratorIllPlEEZN8rajaperf4apps13INTSC_HEXRECT17runHipVariantImplILm64EEEvNSM_9VariantIDEEUllE0_lNS_4expt15ForallParamPackIJEEES6_SA_TnNSt9enable_ifIXaasr3std10is_base_ofINS5_10DirectBaseET4_EE5valuegtsrT5_10block_sizeLi0EEmE4typeELm64EEEvT1_T0_T2_T3_.uses_flat_scratch, 0
	.set _ZN4RAJA6policy3hip4impl18forallp_hip_kernelINS1_8hip_execINS_17iteration_mapping6DirectENS_3hip11IndexGlobalILNS_9named_dimE0ELi64ELi0EEENS7_40AvoidDeviceMaxThreadOccupancyConcretizerINS7_34FractionOffsetOccupancyConcretizerINS_8FractionImLm1ELm1EEELln1EEEEELb1EEENS_9Iterators16numeric_iteratorIllPlEEZN8rajaperf4apps13INTSC_HEXRECT17runHipVariantImplILm64EEEvNSM_9VariantIDEEUllE0_lNS_4expt15ForallParamPackIJEEES6_SA_TnNSt9enable_ifIXaasr3std10is_base_ofINS5_10DirectBaseET4_EE5valuegtsrT5_10block_sizeLi0EEmE4typeELm64EEEvT1_T0_T2_T3_.has_dyn_sized_stack, 0
	.set _ZN4RAJA6policy3hip4impl18forallp_hip_kernelINS1_8hip_execINS_17iteration_mapping6DirectENS_3hip11IndexGlobalILNS_9named_dimE0ELi64ELi0EEENS7_40AvoidDeviceMaxThreadOccupancyConcretizerINS7_34FractionOffsetOccupancyConcretizerINS_8FractionImLm1ELm1EEELln1EEEEELb1EEENS_9Iterators16numeric_iteratorIllPlEEZN8rajaperf4apps13INTSC_HEXRECT17runHipVariantImplILm64EEEvNSM_9VariantIDEEUllE0_lNS_4expt15ForallParamPackIJEEES6_SA_TnNSt9enable_ifIXaasr3std10is_base_ofINS5_10DirectBaseET4_EE5valuegtsrT5_10block_sizeLi0EEmE4typeELm64EEEvT1_T0_T2_T3_.has_recursion, 0
	.set _ZN4RAJA6policy3hip4impl18forallp_hip_kernelINS1_8hip_execINS_17iteration_mapping6DirectENS_3hip11IndexGlobalILNS_9named_dimE0ELi64ELi0EEENS7_40AvoidDeviceMaxThreadOccupancyConcretizerINS7_34FractionOffsetOccupancyConcretizerINS_8FractionImLm1ELm1EEELln1EEEEELb1EEENS_9Iterators16numeric_iteratorIllPlEEZN8rajaperf4apps13INTSC_HEXRECT17runHipVariantImplILm64EEEvNSM_9VariantIDEEUllE0_lNS_4expt15ForallParamPackIJEEES6_SA_TnNSt9enable_ifIXaasr3std10is_base_ofINS5_10DirectBaseET4_EE5valuegtsrT5_10block_sizeLi0EEmE4typeELm64EEEvT1_T0_T2_T3_.has_indirect_call, 0
	.section	.AMDGPU.csdata,"",@progbits
; Kernel info:
; codeLenInByte = 55584
; TotalNumSgprs: 56
; NumVgprs: 132
; ScratchSize: 416
; MemoryBound: 0
; FloatMode: 240
; IeeeMode: 1
; LDSByteSize: 15872 bytes/workgroup (compile time only)
; SGPRBlocks: 12
; VGPRBlocks: 32
; NumSGPRsForWavesPerEU: 102
; NumVGPRsForWavesPerEU: 132
; Occupancy: 1
; WaveLimiterHint : 1
; COMPUTE_PGM_RSRC2:SCRATCH_EN: 1
; COMPUTE_PGM_RSRC2:USER_SGPR: 6
; COMPUTE_PGM_RSRC2:TRAP_HANDLER: 0
; COMPUTE_PGM_RSRC2:TGID_X_EN: 1
; COMPUTE_PGM_RSRC2:TGID_Y_EN: 0
; COMPUTE_PGM_RSRC2:TGID_Z_EN: 0
; COMPUTE_PGM_RSRC2:TIDIG_COMP_CNT: 0
	.section	.AMDGPU.gpr_maximums,"",@progbits
	.set amdgpu.max_num_vgpr, 0
	.set amdgpu.max_num_agpr, 0
	.set amdgpu.max_num_sgpr, 0
	.section	.AMDGPU.csdata,"",@progbits
	.type	__hip_cuid_b3fbdee17307e15f,@object ; @__hip_cuid_b3fbdee17307e15f
	.section	.bss,"aw",@nobits
	.globl	__hip_cuid_b3fbdee17307e15f
__hip_cuid_b3fbdee17307e15f:
	.byte	0                               ; 0x0
	.size	__hip_cuid_b3fbdee17307e15f, 1

	.ident	"AMD clang version 22.0.0git (https://github.com/RadeonOpenCompute/llvm-project roc-7.2.4 26084 f58b06dce1f9c15707c5f808fd002e18c2accf7e)"
	.section	".note.GNU-stack","",@progbits
	.addrsig
	.addrsig_sym __hip_cuid_b3fbdee17307e15f
	.amdgpu_metadata
---
amdhsa.kernels:
  - .args:
      - .address_space:  global
        .offset:         0
        .size:           8
        .value_kind:     global_buffer
      - .address_space:  global
        .offset:         8
        .size:           8
        .value_kind:     global_buffer
      - .address_space:  global
        .offset:         16
        .size:           8
        .value_kind:     global_buffer
      - .address_space:  global
        .offset:         24
        .size:           8
        .value_kind:     global_buffer
      - .address_space:  global
        .offset:         32
        .size:           8
        .value_kind:     global_buffer
      - .address_space:  global
        .offset:         40
        .size:           8
        .value_kind:     global_buffer
      - .address_space:  global
        .offset:         48
        .size:           8
        .value_kind:     global_buffer
      - .offset:         56
        .size:           8
        .value_kind:     by_value
      - .address_space:  global
        .offset:         64
        .size:           8
        .value_kind:     global_buffer
    .group_segment_fixed_size: 15872
    .kernarg_segment_align: 8
    .kernarg_segment_size: 72
    .language:       OpenCL C
    .language_version:
      - 2
      - 0
    .max_flat_workgroup_size: 64
    .name:           _ZN8rajaperf4apps17intsc_hexrect_hipILm64EEEvPdS2_S2_PiPcS3_S3_lS2_
    .private_segment_fixed_size: 416
    .sgpr_count:     44
    .sgpr_spill_count: 0
    .symbol:         _ZN8rajaperf4apps17intsc_hexrect_hipILm64EEEvPdS2_S2_PiPcS3_S3_lS2_.kd
    .uniform_work_group_size: 1
    .uses_dynamic_stack: false
    .vgpr_count:     131
    .vgpr_spill_count: 0
    .wavefront_size: 64
  - .args:
      - .offset:         0
        .size:           8
        .value_kind:     by_value
      - .offset:         8
        .size:           8
        .value_kind:     by_value
      - .offset:         16
        .size:           72
        .value_kind:     by_value
    .group_segment_fixed_size: 15872
    .kernarg_segment_align: 8
    .kernarg_segment_size: 88
    .language:       OpenCL C
    .language_version:
      - 2
      - 0
    .max_flat_workgroup_size: 64
    .name:           _ZN8rajaperf17lambda_hip_forallILm64EZNS_4apps13INTSC_HEXRECT17runHipVariantImplILm64EEEvNS_9VariantIDEEUllE_EEvllT0_
    .private_segment_fixed_size: 416
    .sgpr_count:     56
    .sgpr_spill_count: 0
    .symbol:         _ZN8rajaperf17lambda_hip_forallILm64EZNS_4apps13INTSC_HEXRECT17runHipVariantImplILm64EEEvNS_9VariantIDEEUllE_EEvllT0_.kd
    .uniform_work_group_size: 1
    .uses_dynamic_stack: false
    .vgpr_count:     132
    .vgpr_spill_count: 0
    .wavefront_size: 64
  - .args:
      - .offset:         0
        .size:           72
        .value_kind:     by_value
      - .offset:         72
        .size:           8
        .value_kind:     by_value
      - .offset:         80
        .size:           8
        .value_kind:     by_value
      - .offset:         88
        .size:           1
        .value_kind:     by_value
    .group_segment_fixed_size: 15872
    .kernarg_segment_align: 8
    .kernarg_segment_size: 92
    .language:       OpenCL C
    .language_version:
      - 2
      - 0
    .max_flat_workgroup_size: 64
    .name:           _ZN4RAJA6policy3hip4impl18forallp_hip_kernelINS1_8hip_execINS_17iteration_mapping6DirectENS_3hip11IndexGlobalILNS_9named_dimE0ELi64ELi0EEENS7_40AvoidDeviceMaxThreadOccupancyConcretizerINS7_34FractionOffsetOccupancyConcretizerINS_8FractionImLm1ELm1EEELln1EEEEELb1EEENS_9Iterators16numeric_iteratorIllPlEEZN8rajaperf4apps13INTSC_HEXRECT17runHipVariantImplILm64EEEvNSM_9VariantIDEEUllE0_lNS_4expt15ForallParamPackIJEEES6_SA_TnNSt9enable_ifIXaasr3std10is_base_ofINS5_10DirectBaseET4_EE5valuegtsrT5_10block_sizeLi0EEmE4typeELm64EEEvT1_T0_T2_T3_
    .private_segment_fixed_size: 416
    .sgpr_count:     56
    .sgpr_spill_count: 0
    .symbol:         _ZN4RAJA6policy3hip4impl18forallp_hip_kernelINS1_8hip_execINS_17iteration_mapping6DirectENS_3hip11IndexGlobalILNS_9named_dimE0ELi64ELi0EEENS7_40AvoidDeviceMaxThreadOccupancyConcretizerINS7_34FractionOffsetOccupancyConcretizerINS_8FractionImLm1ELm1EEELln1EEEEELb1EEENS_9Iterators16numeric_iteratorIllPlEEZN8rajaperf4apps13INTSC_HEXRECT17runHipVariantImplILm64EEEvNSM_9VariantIDEEUllE0_lNS_4expt15ForallParamPackIJEEES6_SA_TnNSt9enable_ifIXaasr3std10is_base_ofINS5_10DirectBaseET4_EE5valuegtsrT5_10block_sizeLi0EEmE4typeELm64EEEvT1_T0_T2_T3_.kd
    .uniform_work_group_size: 1
    .uses_dynamic_stack: false
    .vgpr_count:     132
    .vgpr_spill_count: 0
    .wavefront_size: 64
amdhsa.target:   amdgcn-amd-amdhsa--gfx906
amdhsa.version:
  - 1
  - 2
...

	.end_amdgpu_metadata
